;; amdgpu-corpus repo=pytorch/pytorch kind=compiled arch=gfx906 opt=O3
	.amdgcn_target "amdgcn-amd-amdhsa--gfx906"
	.amdhsa_code_object_version 6
	.section	.text._ZN2at6native12_GLOBAL__N_119adaptiveaveragepoolIddEEvPKT_PS3_iiiiiilllllll,"axG",@progbits,_ZN2at6native12_GLOBAL__N_119adaptiveaveragepoolIddEEvPKT_PS3_iiiiiilllllll,comdat
	.globl	_ZN2at6native12_GLOBAL__N_119adaptiveaveragepoolIddEEvPKT_PS3_iiiiiilllllll ; -- Begin function _ZN2at6native12_GLOBAL__N_119adaptiveaveragepoolIddEEvPKT_PS3_iiiiiilllllll
	.p2align	8
	.type	_ZN2at6native12_GLOBAL__N_119adaptiveaveragepoolIddEEvPKT_PS3_iiiiiilllllll,@function
_ZN2at6native12_GLOBAL__N_119adaptiveaveragepoolIddEEvPKT_PS3_iiiiiilllllll: ; @_ZN2at6native12_GLOBAL__N_119adaptiveaveragepoolIddEEvPKT_PS3_iiiiiilllllll
; %bb.0:
	s_load_dwordx2 s[0:1], s[4:5], 0x58
	s_load_dwordx4 s[16:19], s[4:5], 0x10
	s_load_dwordx2 s[24:25], s[4:5], 0x20
	s_mov_b32 s8, 0
	s_waitcnt lgkmcnt(0)
	s_add_u32 s26, s0, s6
	s_addc_u32 s27, s1, 0
	s_ashr_i32 s3, s19, 31
	s_mov_b32 s2, s19
	s_or_b64 s[0:1], s[26:27], s[2:3]
	s_mov_b32 s9, s1
	s_cmp_lg_u64 s[8:9], 0
	s_cbranch_scc0 .LBB0_55
; %bb.1:
	s_ashr_i32 s0, s3, 31
	s_add_u32 s8, s2, s0
	s_mov_b32 s1, s0
	s_addc_u32 s9, s3, s0
	s_xor_b64 s[10:11], s[8:9], s[0:1]
	v_cvt_f32_u32_e32 v2, s10
	v_cvt_f32_u32_e32 v3, s11
	s_sub_u32 s6, 0, s10
	s_subb_u32 s14, 0, s11
	v_madmk_f32 v2, v3, 0x4f800000, v2
	v_rcp_f32_e32 v2, v2
	v_mul_f32_e32 v2, 0x5f7ffffc, v2
	v_mul_f32_e32 v3, 0x2f800000, v2
	v_trunc_f32_e32 v3, v3
	v_madmk_f32 v2, v3, 0xcf800000, v2
	v_cvt_u32_f32_e32 v3, v3
	v_cvt_u32_f32_e32 v2, v2
	v_readfirstlane_b32 s15, v3
	v_readfirstlane_b32 s12, v2
	s_mul_i32 s13, s6, s15
	s_mul_hi_u32 s20, s6, s12
	s_mul_i32 s19, s14, s12
	s_add_i32 s13, s20, s13
	s_add_i32 s13, s13, s19
	s_mul_i32 s21, s6, s12
	s_mul_i32 s20, s12, s13
	s_mul_hi_u32 s22, s12, s21
	s_mul_hi_u32 s19, s12, s13
	s_add_u32 s20, s22, s20
	s_addc_u32 s19, 0, s19
	s_mul_hi_u32 s23, s15, s21
	s_mul_i32 s21, s15, s21
	s_add_u32 s20, s20, s21
	s_mul_hi_u32 s22, s15, s13
	s_addc_u32 s19, s19, s23
	s_addc_u32 s20, s22, 0
	s_mul_i32 s13, s15, s13
	s_add_u32 s13, s19, s13
	s_addc_u32 s19, 0, s20
	s_add_u32 s20, s12, s13
	s_cselect_b64 s[12:13], -1, 0
	s_cmp_lg_u64 s[12:13], 0
	s_addc_u32 s15, s15, s19
	s_mul_i32 s12, s6, s15
	s_mul_hi_u32 s13, s6, s20
	s_add_i32 s12, s13, s12
	s_mul_i32 s14, s14, s20
	s_add_i32 s12, s12, s14
	s_mul_i32 s6, s6, s20
	s_mul_hi_u32 s14, s15, s6
	s_mul_i32 s19, s15, s6
	s_mul_i32 s22, s20, s12
	s_mul_hi_u32 s6, s20, s6
	s_mul_hi_u32 s21, s20, s12
	s_add_u32 s6, s6, s22
	s_addc_u32 s21, 0, s21
	s_add_u32 s6, s6, s19
	s_mul_hi_u32 s13, s15, s12
	s_addc_u32 s6, s21, s14
	s_addc_u32 s13, s13, 0
	s_mul_i32 s12, s15, s12
	s_add_u32 s6, s6, s12
	s_addc_u32 s14, 0, s13
	s_add_u32 s6, s20, s6
	s_cselect_b64 s[12:13], -1, 0
	s_cmp_lg_u64 s[12:13], 0
	s_addc_u32 s19, s15, s14
	s_ashr_i32 s12, s27, 31
	s_add_u32 s14, s26, s12
	s_mov_b32 s13, s12
	s_addc_u32 s15, s27, s12
	s_xor_b64 s[14:15], s[14:15], s[12:13]
	s_mul_i32 s21, s14, s19
	s_mul_hi_u32 s22, s14, s6
	s_mul_hi_u32 s20, s14, s19
	s_add_u32 s21, s22, s21
	s_addc_u32 s20, 0, s20
	s_mul_hi_u32 s23, s15, s6
	s_mul_i32 s6, s15, s6
	s_add_u32 s6, s21, s6
	s_mul_hi_u32 s22, s15, s19
	s_addc_u32 s6, s20, s23
	s_addc_u32 s20, s22, 0
	s_mul_i32 s19, s15, s19
	s_add_u32 s6, s6, s19
	s_addc_u32 s19, 0, s20
	s_mul_i32 s20, s10, s19
	s_mul_hi_u32 s21, s10, s6
	s_add_i32 s20, s21, s20
	s_mul_i32 s21, s11, s6
	s_add_i32 s28, s20, s21
	s_sub_i32 s22, s15, s28
	s_mul_i32 s20, s10, s6
	s_sub_u32 s14, s14, s20
	s_cselect_b64 s[20:21], -1, 0
	s_cmp_lg_u64 s[20:21], 0
	s_subb_u32 s29, s22, s11
	s_sub_u32 s30, s14, s10
	s_cselect_b64 s[22:23], -1, 0
	s_cmp_lg_u64 s[22:23], 0
	s_subb_u32 s22, s29, 0
	s_cmp_ge_u32 s22, s11
	s_cselect_b32 s23, -1, 0
	s_cmp_ge_u32 s30, s10
	s_cselect_b32 s29, -1, 0
	s_cmp_eq_u32 s22, s11
	s_cselect_b32 s22, s29, s23
	s_add_u32 s23, s6, 1
	s_addc_u32 s29, s19, 0
	s_add_u32 s30, s6, 2
	s_addc_u32 s31, s19, 0
	s_cmp_lg_u32 s22, 0
	s_cselect_b32 s22, s30, s23
	s_cselect_b32 s23, s31, s29
	s_cmp_lg_u64 s[20:21], 0
	s_subb_u32 s15, s15, s28
	s_cmp_ge_u32 s15, s11
	s_cselect_b32 s20, -1, 0
	s_cmp_ge_u32 s14, s10
	s_cselect_b32 s10, -1, 0
	s_cmp_eq_u32 s15, s11
	s_cselect_b32 s10, s10, s20
	s_cmp_lg_u32 s10, 0
	s_cselect_b32 s11, s23, s19
	s_cselect_b32 s10, s22, s6
	s_xor_b64 s[0:1], s[12:13], s[0:1]
	s_xor_b64 s[10:11], s[10:11], s[0:1]
	s_sub_u32 s0, s10, s0
	s_subb_u32 s1, s11, s1
	s_cbranch_execnz .LBB0_3
.LBB0_2:
	v_cvt_f32_u32_e32 v2, s2
	s_sub_i32 s0, 0, s2
	s_mov_b32 s1, 0
	v_rcp_iflag_f32_e32 v2, v2
	v_mul_f32_e32 v2, 0x4f7ffffe, v2
	v_cvt_u32_f32_e32 v2, v2
	v_readfirstlane_b32 s6, v2
	s_mul_i32 s0, s0, s6
	s_mul_hi_u32 s0, s6, s0
	s_add_i32 s6, s6, s0
	s_mul_hi_u32 s0, s26, s6
	s_mul_i32 s8, s0, s2
	s_sub_i32 s8, s26, s8
	s_add_i32 s6, s0, 1
	s_sub_i32 s9, s8, s2
	s_cmp_ge_u32 s8, s2
	s_cselect_b32 s0, s6, s0
	s_cselect_b32 s8, s9, s8
	s_add_i32 s6, s0, 1
	s_cmp_ge_u32 s8, s2
	s_cselect_b32 s0, s6, s0
.LBB0_3:
	s_mul_i32 s6, s0, s3
	s_mul_hi_u32 s8, s0, s2
	s_add_i32 s6, s8, s6
	s_mul_i32 s8, s1, s2
	s_add_i32 s8, s6, s8
	s_mul_i32 s6, s0, s2
	s_sub_u32 s6, s26, s6
	s_subb_u32 s20, s27, s8
	s_abs_i32 s8, s2
	v_cvt_f32_u32_e32 v2, s8
	s_sub_i32 s12, 0, s8
	s_abs_i32 s11, s6
	s_xor_b32 s9, s6, s2
	v_rcp_iflag_f32_e32 v2, v2
	s_ashr_i32 s21, s16, 31
	s_ashr_i32 s9, s9, 31
	s_mov_b32 s10, 0
	v_mul_f32_e32 v2, 0x4f7ffffe, v2
	v_cvt_u32_f32_e32 v2, v2
	v_readfirstlane_b32 s13, v2
	s_mul_i32 s12, s12, s13
	s_mul_hi_u32 s12, s13, s12
	s_add_i32 s13, s13, s12
	s_mul_hi_u32 s12, s11, s13
	s_mul_i32 s13, s12, s8
	s_sub_i32 s11, s11, s13
	s_add_i32 s13, s12, 1
	s_sub_i32 s14, s11, s8
	s_cmp_ge_u32 s11, s8
	s_cselect_b32 s12, s13, s12
	s_cselect_b32 s11, s14, s11
	s_add_i32 s13, s12, 1
	s_cmp_ge_u32 s11, s8
	s_cselect_b32 s8, s13, s12
	s_xor_b32 s8, s8, s9
	s_sub_i32 s19, s8, s9
	s_mul_i32 s8, s19, s2
	s_sub_i32 s8, s6, s8
	s_mul_hi_i32 s9, s8, s16
	s_mul_i32 s8, s8, s16
	s_or_b64 s[12:13], s[8:9], s[2:3]
	s_mov_b32 s11, s13
	s_cmp_lg_u64 s[10:11], 0
	s_cbranch_scc0 .LBB0_56
; %bb.4:
	s_ashr_i32 s10, s3, 31
	s_add_u32 s12, s2, s10
	s_mov_b32 s11, s10
	s_addc_u32 s13, s3, s10
	s_xor_b64 s[14:15], s[12:13], s[10:11]
	v_cvt_f32_u32_e32 v2, s14
	v_cvt_f32_u32_e32 v3, s15
	s_sub_u32 s28, 0, s14
	s_subb_u32 s29, 0, s15
	v_madmk_f32 v2, v3, 0x4f800000, v2
	v_rcp_f32_e32 v2, v2
	v_mul_f32_e32 v2, 0x5f7ffffc, v2
	v_mul_f32_e32 v3, 0x2f800000, v2
	v_trunc_f32_e32 v3, v3
	v_madmk_f32 v2, v3, 0xcf800000, v2
	v_cvt_u32_f32_e32 v3, v3
	v_cvt_u32_f32_e32 v2, v2
	v_readfirstlane_b32 s30, v3
	v_readfirstlane_b32 s22, v2
	s_mul_i32 s23, s28, s30
	s_mul_hi_u32 s33, s28, s22
	s_mul_i32 s31, s29, s22
	s_add_i32 s23, s33, s23
	s_add_i32 s23, s23, s31
	s_mul_i32 s34, s28, s22
	s_mul_i32 s33, s22, s23
	s_mul_hi_u32 s35, s22, s34
	s_mul_hi_u32 s31, s22, s23
	s_add_u32 s33, s35, s33
	s_addc_u32 s31, 0, s31
	s_mul_hi_u32 s36, s30, s34
	s_mul_i32 s34, s30, s34
	s_add_u32 s33, s33, s34
	s_mul_hi_u32 s35, s30, s23
	s_addc_u32 s31, s31, s36
	s_addc_u32 s33, s35, 0
	s_mul_i32 s23, s30, s23
	s_add_u32 s23, s31, s23
	s_addc_u32 s31, 0, s33
	s_add_u32 s33, s22, s23
	s_cselect_b64 s[22:23], -1, 0
	s_cmp_lg_u64 s[22:23], 0
	s_addc_u32 s30, s30, s31
	s_mul_i32 s22, s28, s30
	s_mul_hi_u32 s23, s28, s33
	s_add_i32 s22, s23, s22
	s_mul_i32 s29, s29, s33
	s_add_i32 s22, s22, s29
	s_mul_i32 s28, s28, s33
	s_mul_hi_u32 s29, s30, s28
	s_mul_i32 s31, s30, s28
	s_mul_i32 s35, s33, s22
	s_mul_hi_u32 s28, s33, s28
	s_mul_hi_u32 s34, s33, s22
	s_add_u32 s28, s28, s35
	s_addc_u32 s34, 0, s34
	s_add_u32 s28, s28, s31
	s_mul_hi_u32 s23, s30, s22
	s_addc_u32 s28, s34, s29
	s_addc_u32 s23, s23, 0
	s_mul_i32 s22, s30, s22
	s_add_u32 s22, s28, s22
	s_addc_u32 s28, 0, s23
	s_add_u32 s31, s33, s22
	s_cselect_b64 s[22:23], -1, 0
	s_cmp_lg_u64 s[22:23], 0
	s_addc_u32 s30, s30, s28
	s_ashr_i32 s22, s9, 31
	s_add_u32 s28, s8, s22
	s_mov_b32 s23, s22
	s_addc_u32 s29, s9, s22
	s_xor_b64 s[28:29], s[28:29], s[22:23]
	s_mul_i32 s33, s28, s30
	s_mul_hi_u32 s34, s28, s31
	s_mul_hi_u32 s9, s28, s30
	s_add_u32 s33, s34, s33
	s_addc_u32 s9, 0, s9
	s_mul_hi_u32 s35, s29, s31
	s_mul_i32 s31, s29, s31
	s_add_u32 s31, s33, s31
	s_mul_hi_u32 s34, s29, s30
	s_addc_u32 s9, s9, s35
	s_addc_u32 s31, s34, 0
	s_mul_i32 s30, s29, s30
	s_add_u32 s9, s9, s30
	s_addc_u32 s33, 0, s31
	s_mul_i32 s30, s14, s33
	s_mul_hi_u32 s31, s14, s9
	s_add_i32 s30, s31, s30
	s_mul_i32 s31, s15, s9
	s_add_i32 s36, s30, s31
	s_sub_i32 s34, s29, s36
	s_mul_i32 s30, s14, s9
	s_sub_u32 s28, s28, s30
	s_cselect_b64 s[30:31], -1, 0
	s_cmp_lg_u64 s[30:31], 0
	s_subb_u32 s37, s34, s15
	s_sub_u32 s38, s28, s14
	s_cselect_b64 s[34:35], -1, 0
	s_cmp_lg_u64 s[34:35], 0
	s_subb_u32 s34, s37, 0
	s_cmp_ge_u32 s34, s15
	s_cselect_b32 s35, -1, 0
	s_cmp_ge_u32 s38, s14
	s_cselect_b32 s37, -1, 0
	s_cmp_eq_u32 s34, s15
	s_cselect_b32 s34, s37, s35
	s_add_u32 s35, s9, 1
	s_addc_u32 s37, s33, 0
	s_add_u32 s38, s9, 2
	s_addc_u32 s39, s33, 0
	s_cmp_lg_u32 s34, 0
	s_cselect_b32 s34, s38, s35
	s_cselect_b32 s35, s39, s37
	s_cmp_lg_u64 s[30:31], 0
	s_subb_u32 s29, s29, s36
	s_cmp_ge_u32 s29, s15
	s_cselect_b32 s30, -1, 0
	s_cmp_ge_u32 s28, s14
	s_cselect_b32 s14, -1, 0
	s_cmp_eq_u32 s29, s15
	s_cselect_b32 s14, s14, s30
	s_cmp_lg_u32 s14, 0
	s_cselect_b32 s15, s35, s33
	s_cselect_b32 s14, s34, s9
	s_xor_b64 s[10:11], s[22:23], s[10:11]
	s_xor_b64 s[14:15], s[14:15], s[10:11]
	s_sub_u32 s28, s14, s10
	s_cbranch_execnz .LBB0_6
.LBB0_5:
	v_cvt_f32_u32_e32 v2, s2
	s_sub_i32 s9, 0, s2
	v_rcp_iflag_f32_e32 v2, v2
	v_mul_f32_e32 v2, 0x4f7ffffe, v2
	v_cvt_u32_f32_e32 v2, v2
	v_readfirstlane_b32 s10, v2
	s_mul_i32 s9, s9, s10
	s_mul_hi_u32 s9, s10, s9
	s_add_i32 s10, s10, s9
	s_mul_hi_u32 s9, s8, s10
	s_mul_i32 s11, s9, s2
	s_sub_i32 s8, s8, s11
	s_add_i32 s10, s9, 1
	s_sub_i32 s11, s8, s2
	s_cmp_ge_u32 s8, s2
	s_cselect_b32 s9, s10, s9
	s_cselect_b32 s8, s11, s8
	s_add_i32 s10, s9, 1
	s_cmp_ge_u32 s8, s2
	s_cselect_b32 s28, s10, s9
.LBB0_6:
	s_add_u32 s6, s6, 1
	s_addc_u32 s8, s20, 0
	s_mul_i32 s9, s6, s21
	s_mul_hi_u32 s10, s6, s16
	s_add_i32 s9, s10, s9
	s_mul_i32 s8, s8, s16
	s_add_i32 s9, s9, s8
	s_mul_i32 s6, s6, s16
	s_add_u32 s8, s6, -1
	s_addc_u32 s9, s9, -1
	s_or_b64 s[10:11], s[8:9], s[2:3]
	s_mov_b32 s10, 0
	s_cmp_lg_u64 s[10:11], 0
	s_mov_b64 s[10:11], -1
	s_cbranch_scc0 .LBB0_57
; %bb.7:
	s_ashr_i32 s12, s3, 31
	s_add_u32 s10, s2, s12
	s_mov_b32 s13, s12
	s_addc_u32 s11, s3, s12
	s_xor_b64 s[14:15], s[10:11], s[12:13]
	v_cvt_f32_u32_e32 v2, s14
	v_cvt_f32_u32_e32 v3, s15
	s_sub_u32 s3, 0, s14
	s_subb_u32 s6, 0, s15
	v_madmk_f32 v2, v3, 0x4f800000, v2
	v_rcp_f32_e32 v2, v2
	v_mul_f32_e32 v2, 0x5f7ffffc, v2
	v_mul_f32_e32 v3, 0x2f800000, v2
	v_trunc_f32_e32 v3, v3
	v_madmk_f32 v2, v3, 0xcf800000, v2
	v_cvt_u32_f32_e32 v3, v3
	v_cvt_u32_f32_e32 v2, v2
	v_readfirstlane_b32 s22, v3
	v_readfirstlane_b32 s20, v2
	s_mul_i32 s21, s3, s22
	s_mul_hi_u32 s29, s3, s20
	s_mul_i32 s23, s6, s20
	s_add_i32 s21, s29, s21
	s_add_i32 s21, s21, s23
	s_mul_i32 s30, s3, s20
	s_mul_i32 s29, s20, s21
	s_mul_hi_u32 s31, s20, s30
	s_mul_hi_u32 s23, s20, s21
	s_add_u32 s29, s31, s29
	s_addc_u32 s23, 0, s23
	s_mul_hi_u32 s33, s22, s30
	s_mul_i32 s30, s22, s30
	s_add_u32 s29, s29, s30
	s_mul_hi_u32 s31, s22, s21
	s_addc_u32 s23, s23, s33
	s_addc_u32 s29, s31, 0
	s_mul_i32 s21, s22, s21
	s_add_u32 s21, s23, s21
	s_addc_u32 s23, 0, s29
	s_add_u32 s29, s20, s21
	s_cselect_b64 s[20:21], -1, 0
	s_cmp_lg_u64 s[20:21], 0
	s_addc_u32 s22, s22, s23
	s_mul_i32 s20, s3, s22
	s_mul_hi_u32 s21, s3, s29
	s_add_i32 s20, s21, s20
	s_mul_i32 s6, s6, s29
	s_add_i32 s20, s20, s6
	s_mul_i32 s3, s3, s29
	s_mul_hi_u32 s21, s22, s3
	s_mul_i32 s23, s22, s3
	s_mul_i32 s31, s29, s20
	s_mul_hi_u32 s3, s29, s3
	s_mul_hi_u32 s30, s29, s20
	s_add_u32 s3, s3, s31
	s_addc_u32 s30, 0, s30
	s_add_u32 s3, s3, s23
	s_mul_hi_u32 s6, s22, s20
	s_addc_u32 s3, s30, s21
	s_addc_u32 s6, s6, 0
	s_mul_i32 s20, s22, s20
	s_add_u32 s3, s3, s20
	s_addc_u32 s6, 0, s6
	s_add_u32 s3, s29, s3
	s_cselect_b64 s[20:21], -1, 0
	s_cmp_lg_u64 s[20:21], 0
	s_addc_u32 s6, s22, s6
	s_ashr_i32 s20, s9, 31
	s_add_u32 s22, s8, s20
	s_mov_b32 s21, s20
	s_addc_u32 s23, s9, s20
	s_xor_b64 s[22:23], s[22:23], s[20:21]
	s_mul_i32 s29, s22, s6
	s_mul_hi_u32 s30, s22, s3
	s_mul_hi_u32 s9, s22, s6
	s_add_u32 s29, s30, s29
	s_addc_u32 s9, 0, s9
	s_mul_hi_u32 s31, s23, s3
	s_mul_i32 s3, s23, s3
	s_add_u32 s3, s29, s3
	s_mul_hi_u32 s30, s23, s6
	s_addc_u32 s3, s9, s31
	s_addc_u32 s9, s30, 0
	s_mul_i32 s6, s23, s6
	s_add_u32 s3, s3, s6
	s_addc_u32 s6, 0, s9
	s_mul_i32 s9, s14, s6
	s_mul_hi_u32 s29, s14, s3
	s_add_i32 s9, s29, s9
	s_mul_i32 s29, s15, s3
	s_add_i32 s9, s9, s29
	s_sub_i32 s29, s23, s9
	s_mul_i32 s30, s14, s3
	s_sub_u32 s22, s22, s30
	s_cselect_b64 s[30:31], -1, 0
	s_cmp_lg_u64 s[30:31], 0
	s_subb_u32 s29, s29, s15
	s_sub_u32 s33, s22, s14
	s_cselect_b64 s[34:35], -1, 0
	s_cmp_lg_u64 s[34:35], 0
	s_subb_u32 s29, s29, 0
	s_cmp_ge_u32 s29, s15
	s_cselect_b32 s34, -1, 0
	s_cmp_ge_u32 s33, s14
	s_cselect_b32 s33, -1, 0
	s_cmp_eq_u32 s29, s15
	s_cselect_b32 s29, s33, s34
	s_add_u32 s33, s3, 1
	s_addc_u32 s34, s6, 0
	s_add_u32 s35, s3, 2
	s_addc_u32 s36, s6, 0
	s_cmp_lg_u32 s29, 0
	s_cselect_b32 s29, s35, s33
	s_cselect_b32 s33, s36, s34
	s_cmp_lg_u64 s[30:31], 0
	s_subb_u32 s9, s23, s9
	s_cmp_ge_u32 s9, s15
	s_cselect_b32 s23, -1, 0
	s_cmp_ge_u32 s22, s14
	s_cselect_b32 s14, -1, 0
	s_cmp_eq_u32 s9, s15
	s_cselect_b32 s9, s14, s23
	s_cmp_lg_u32 s9, 0
	s_cselect_b32 s15, s33, s6
	s_cselect_b32 s14, s29, s3
	s_xor_b64 s[12:13], s[20:21], s[12:13]
	s_xor_b64 s[14:15], s[14:15], s[12:13]
	s_sub_u32 s30, s14, s12
	s_load_dword s31, s[4:5], 0x6c
	s_cbranch_execnz .LBB0_9
.LBB0_8:
	v_cvt_f32_u32_e32 v2, s2
	s_sub_i32 s3, 0, s2
	v_rcp_iflag_f32_e32 v2, v2
	v_mul_f32_e32 v2, 0x4f7ffffe, v2
	v_cvt_u32_f32_e32 v2, v2
	v_readfirstlane_b32 s6, v2
	s_mul_i32 s3, s3, s6
	s_mul_hi_u32 s3, s6, s3
	s_add_i32 s6, s6, s3
	s_mul_hi_u32 s3, s8, s6
	s_mul_i32 s9, s3, s2
	s_sub_i32 s8, s8, s9
	s_add_i32 s6, s3, 1
	s_sub_i32 s9, s8, s2
	s_cmp_ge_u32 s8, s2
	s_cselect_b32 s3, s6, s3
	s_cselect_b32 s8, s9, s8
	s_add_i32 s6, s3, 1
	s_cmp_ge_u32 s8, s2
	s_cselect_b32 s30, s6, s3
.LBB0_9:
	s_waitcnt lgkmcnt(0)
	s_lshr_b32 s29, s31, 16
	s_mul_i32 s7, s7, s29
	v_add_u32_e32 v10, s7, v1
	v_cmp_gt_i32_e32 vcc, s24, v10
	s_and_saveexec_b64 s[2:3], vcc
	s_cbranch_execz .LBB0_54
; %bb.10:
	s_load_dwordx8 s[8:15], s[4:5], 0x28
	s_load_dwordx4 s[20:23], s[4:5], 0x48
	s_bfe_i64 s[6:7], s[0:1], 0x200000
	s_mov_b32 s2, 0
	s_waitcnt lgkmcnt(0)
	s_or_b64 s[34:35], s[6:7], s[8:9]
	s_mov_b32 s3, s35
	s_cmp_lg_u64 s[2:3], 0
	s_cbranch_scc0 .LBB0_58
; %bb.11:
	s_ashr_i32 s34, s9, 31
	s_add_u32 s2, s8, s34
	s_mov_b32 s35, s34
	s_addc_u32 s3, s9, s34
	s_xor_b64 s[36:37], s[2:3], s[34:35]
	v_cvt_f32_u32_e32 v1, s36
	v_cvt_f32_u32_e32 v2, s37
	s_sub_u32 s1, 0, s36
	s_subb_u32 s33, 0, s37
	v_madmk_f32 v1, v2, 0x4f800000, v1
	v_rcp_f32_e32 v1, v1
	v_mul_f32_e32 v1, 0x5f7ffffc, v1
	v_mul_f32_e32 v2, 0x2f800000, v1
	v_trunc_f32_e32 v2, v2
	v_madmk_f32 v1, v2, 0xcf800000, v1
	v_cvt_u32_f32_e32 v2, v2
	v_cvt_u32_f32_e32 v1, v1
	v_readfirstlane_b32 s40, v2
	v_readfirstlane_b32 s38, v1
	s_mul_i32 s39, s1, s40
	s_mul_hi_u32 s42, s1, s38
	s_mul_i32 s41, s33, s38
	s_add_i32 s39, s42, s39
	s_add_i32 s39, s39, s41
	s_mul_i32 s43, s1, s38
	s_mul_i32 s42, s38, s39
	s_mul_hi_u32 s44, s38, s43
	s_mul_hi_u32 s41, s38, s39
	s_add_u32 s42, s44, s42
	s_addc_u32 s41, 0, s41
	s_mul_hi_u32 s45, s40, s43
	s_mul_i32 s43, s40, s43
	s_add_u32 s42, s42, s43
	s_mul_hi_u32 s44, s40, s39
	s_addc_u32 s41, s41, s45
	s_addc_u32 s42, s44, 0
	s_mul_i32 s39, s40, s39
	s_add_u32 s39, s41, s39
	s_addc_u32 s41, 0, s42
	s_add_u32 s42, s38, s39
	s_cselect_b64 s[38:39], -1, 0
	s_cmp_lg_u64 s[38:39], 0
	s_addc_u32 s40, s40, s41
	s_mul_i32 s38, s1, s40
	s_mul_hi_u32 s39, s1, s42
	s_add_i32 s38, s39, s38
	s_mul_i32 s33, s33, s42
	s_add_i32 s38, s38, s33
	s_mul_i32 s1, s1, s42
	s_mul_hi_u32 s39, s40, s1
	s_mul_i32 s41, s40, s1
	s_mul_i32 s44, s42, s38
	s_mul_hi_u32 s1, s42, s1
	s_mul_hi_u32 s43, s42, s38
	s_add_u32 s1, s1, s44
	s_addc_u32 s43, 0, s43
	s_add_u32 s1, s1, s41
	s_mul_hi_u32 s33, s40, s38
	s_addc_u32 s1, s43, s39
	s_addc_u32 s33, s33, 0
	s_mul_i32 s38, s40, s38
	s_add_u32 s1, s1, s38
	s_addc_u32 s33, 0, s33
	s_add_u32 s1, s42, s1
	s_cselect_b64 s[38:39], -1, 0
	s_cmp_lg_u64 s[38:39], 0
	s_addc_u32 s33, s40, s33
	s_ashr_i32 s38, s7, 31
	s_add_u32 s40, s6, s38
	s_mov_b32 s39, s38
	s_addc_u32 s41, s7, s38
	s_xor_b64 s[40:41], s[40:41], s[38:39]
	s_mul_i32 s43, s40, s33
	s_mul_hi_u32 s44, s40, s1
	s_mul_hi_u32 s42, s40, s33
	s_add_u32 s43, s44, s43
	s_addc_u32 s42, 0, s42
	s_mul_hi_u32 s45, s41, s1
	s_mul_i32 s1, s41, s1
	s_add_u32 s1, s43, s1
	s_mul_hi_u32 s44, s41, s33
	s_addc_u32 s1, s42, s45
	s_addc_u32 s42, s44, 0
	s_mul_i32 s33, s41, s33
	s_add_u32 s1, s1, s33
	s_addc_u32 s33, 0, s42
	s_mul_i32 s42, s36, s33
	s_mul_hi_u32 s43, s36, s1
	s_add_i32 s42, s43, s42
	s_mul_i32 s43, s37, s1
	s_add_i32 s46, s42, s43
	s_sub_i32 s44, s41, s46
	s_mul_i32 s42, s36, s1
	s_sub_u32 s40, s40, s42
	s_cselect_b64 s[42:43], -1, 0
	s_cmp_lg_u64 s[42:43], 0
	s_subb_u32 s47, s44, s37
	s_sub_u32 s48, s40, s36
	s_cselect_b64 s[44:45], -1, 0
	s_cmp_lg_u64 s[44:45], 0
	s_subb_u32 s44, s47, 0
	s_cmp_ge_u32 s44, s37
	s_cselect_b32 s45, -1, 0
	s_cmp_ge_u32 s48, s36
	s_cselect_b32 s47, -1, 0
	s_cmp_eq_u32 s44, s37
	s_cselect_b32 s44, s47, s45
	s_add_u32 s45, s1, 1
	s_addc_u32 s47, s33, 0
	s_add_u32 s48, s1, 2
	s_addc_u32 s49, s33, 0
	s_cmp_lg_u32 s44, 0
	s_cselect_b32 s44, s48, s45
	s_cselect_b32 s45, s49, s47
	s_cmp_lg_u64 s[42:43], 0
	s_subb_u32 s41, s41, s46
	s_cmp_ge_u32 s41, s37
	s_cselect_b32 s42, -1, 0
	s_cmp_ge_u32 s40, s36
	s_cselect_b32 s36, -1, 0
	s_cmp_eq_u32 s41, s37
	s_cselect_b32 s36, s36, s42
	s_cmp_lg_u32 s36, 0
	s_cselect_b32 s37, s45, s33
	s_cselect_b32 s36, s44, s1
	s_xor_b64 s[34:35], s[38:39], s[34:35]
	s_xor_b64 s[36:37], s[36:37], s[34:35]
	s_sub_u32 s34, s36, s34
	s_subb_u32 s35, s37, s35
	s_load_dword s49, s[4:5], 0x64
	s_cbranch_execnz .LBB0_13
.LBB0_12:
	v_cvt_f32_u32_e32 v1, s8
	s_sub_i32 s1, 0, s8
	s_mov_b32 s35, 0
	v_rcp_iflag_f32_e32 v1, v1
	v_mul_f32_e32 v1, 0x4f7ffffe, v1
	v_cvt_u32_f32_e32 v1, v1
	v_readfirstlane_b32 s2, v1
	s_mul_i32 s1, s1, s2
	s_mul_hi_u32 s1, s2, s1
	s_add_i32 s2, s2, s1
	s_mul_hi_u32 s1, s0, s2
	s_mul_i32 s3, s1, s8
	s_sub_i32 s0, s0, s3
	s_add_i32 s2, s1, 1
	s_sub_i32 s3, s0, s8
	s_cmp_ge_u32 s0, s8
	s_cselect_b32 s1, s2, s1
	s_cselect_b32 s0, s3, s0
	s_add_i32 s2, s1, 1
	s_cmp_ge_u32 s0, s8
	s_cselect_b32 s34, s2, s1
.LBB0_13:
	s_mul_i32 s19, s19, s16
	s_load_dwordx4 s[0:3], s[4:5], 0x0
	s_mul_i32 s16, s25, s24
	s_mul_hi_i32 s4, s25, s24
	s_mul_i32 s5, s16, s27
	s_mul_hi_u32 s27, s16, s26
	s_add_i32 s19, s28, s19
	s_add_i32 s5, s27, s5
	s_mul_i32 s4, s4, s26
	s_sub_i32 s33, s30, s19
	s_add_i32 s5, s5, s4
	s_mul_i32 s4, s16, s26
	s_add_i32 s33, s33, 1
	s_ashr_i32 s36, s24, 31
	s_ashr_i32 s38, s25, 31
	s_lshl_b64 s[4:5], s[4:5], 3
	s_waitcnt lgkmcnt(0)
	s_add_u32 s39, s2, s4
	s_addc_u32 s40, s3, s5
	s_mul_i32 s2, s34, s9
	s_mul_hi_u32 s3, s34, s8
	s_add_i32 s2, s3, s2
	s_mul_i32 s3, s35, s8
	s_and_b32 s41, s31, 0xffff
	s_add_i32 s2, s2, s3
	s_mul_i32 s3, s34, s8
	s_sub_u32 s4, s6, s3
	s_subb_u32 s5, s7, s2
	s_ashr_i32 s42, s17, 31
	s_ashr_i32 s43, s18, 31
	s_cmp_gt_i32 s33, 0
	s_cselect_b64 s[6:7], -1, 0
	s_bfe_i64 s[2:3], s[34:35], 0x200000
	s_mul_i32 s2, s34, s11
	s_mul_hi_u32 s8, s34, s10
	s_add_i32 s2, s8, s2
	s_mul_i32 s3, s3, s10
	s_mul_i32 s8, s4, s13
	s_mul_hi_u32 s9, s4, s12
	s_add_i32 s3, s2, s3
	s_mul_i32 s2, s34, s10
	s_add_i32 s8, s9, s8
	s_mul_i32 s5, s5, s12
	s_add_i32 s5, s8, s5
	s_lshl_b64 s[2:3], s[2:3], 3
	s_mul_i32 s4, s4, s12
	s_add_u32 s2, s0, s2
	s_addc_u32 s3, s1, s3
	s_lshl_b64 s[0:1], s[4:5], 3
	s_add_u32 s44, s2, s0
	s_addc_u32 s45, s3, s1
	s_ashr_i32 s46, s24, 31
	s_add_i32 s0, s24, s46
	s_xor_b32 s47, s0, s46
	s_mov_b32 s37, s24
	v_cvt_f32_u32_e32 v1, s47
	v_cvt_f32_u32_e32 v2, s37
	s_sub_i32 s0, 0, s47
	s_mov_b32 s48, s25
	v_rcp_iflag_f32_e32 v1, v1
	v_rcp_iflag_f32_e32 v2, v2
	s_mul_i32 s49, s49, s29
	s_mov_b32 s50, s17
	v_mul_f32_e32 v1, 0x4f7ffffe, v1
	v_cvt_u32_f32_e32 v1, v1
	v_mul_f32_e32 v2, 0x4f7ffffe, v2
	v_cvt_u32_f32_e32 v3, v2
	s_mov_b32 s8, 0
	v_mul_lo_u32 v2, s0, v1
	s_sub_i32 s0, 0, s24
	v_mul_lo_u32 v4, s0, v3
	v_cmp_gt_i32_e64 s[0:1], s25, v0
	v_mul_hi_u32 v5, v1, v2
	s_mov_b64 s[10:11], 0
	v_mul_hi_u32 v4, v3, v4
	v_mov_b32_e32 v2, 0
	v_add_u32_e32 v11, v1, v5
	v_add_u32_e32 v12, v3, v4
	s_branch .LBB0_15
.LBB0_14:                               ;   in Loop: Header=BB0_15 Depth=1
	s_or_b64 exec, exec, s[12:13]
	v_add_u32_e32 v10, s49, v10
	v_cmp_le_i32_e32 vcc, s24, v10
	s_or_b64 s[10:11], vcc, s[10:11]
	s_andn2_b64 exec, exec, s[10:11]
	s_cbranch_execz .LBB0_54
.LBB0_15:                               ; =>This Loop Header: Depth=1
                                        ;     Child Loop BB0_31 Depth 2
                                        ;       Child Loop BB0_47 Depth 3
                                        ;         Child Loop BB0_50 Depth 4
                                        ;           Child Loop BB0_52 Depth 5
	v_ashrrev_i32_e32 v8, 31, v10
	v_or_b32_e32 v4, s36, v8
	v_mov_b32_e32 v3, v2
	v_cmp_ne_u64_e32 vcc, 0, v[3:4]
                                        ; implicit-def: $vgpr3_vgpr4
	s_and_saveexec_b64 s[2:3], vcc
	s_xor_b64 s[2:3], exec, s[2:3]
	s_cbranch_execz .LBB0_17
; %bb.16:                               ;   in Loop: Header=BB0_15 Depth=1
	v_ashrrev_i32_e32 v1, 31, v10
	v_add_u32_e32 v3, v10, v1
	v_xor_b32_e32 v3, v3, v1
	v_mul_hi_u32 v4, v3, v11
	v_xor_b32_e32 v1, s46, v1
	v_mul_lo_u32 v5, v4, s47
	v_add_u32_e32 v6, 1, v4
	v_sub_u32_e32 v3, v3, v5
	v_subrev_u32_e32 v5, s47, v3
	v_cmp_le_u32_e32 vcc, s47, v3
	v_cndmask_b32_e32 v3, v3, v5, vcc
	v_cndmask_b32_e32 v4, v4, v6, vcc
	v_add_u32_e32 v5, 1, v4
	v_cmp_le_u32_e32 vcc, s47, v3
	v_cndmask_b32_e32 v3, v4, v5, vcc
	v_xor_b32_e32 v3, v3, v1
	v_sub_u32_e32 v3, v3, v1
	v_ashrrev_i32_e32 v4, 31, v3
.LBB0_17:                               ;   in Loop: Header=BB0_15 Depth=1
	s_andn2_saveexec_b64 s[2:3], s[2:3]
	s_cbranch_execz .LBB0_19
; %bb.18:                               ;   in Loop: Header=BB0_15 Depth=1
	v_mul_hi_u32 v1, v10, v12
	v_mul_lo_u32 v3, v1, s37
	v_add_u32_e32 v4, 1, v1
	v_sub_u32_e32 v3, v10, v3
	v_subrev_u32_e32 v5, s37, v3
	v_cmp_le_u32_e32 vcc, s37, v3
	v_cndmask_b32_e32 v3, v3, v5, vcc
	v_cndmask_b32_e32 v1, v1, v4, vcc
	v_add_u32_e32 v4, 1, v1
	v_cmp_le_u32_e32 vcc, s37, v3
	v_cndmask_b32_e32 v1, v1, v4, vcc
	v_mov_b32_e32 v4, v2
	v_mov_b32_e32 v3, v1
.LBB0_19:                               ;   in Loop: Header=BB0_15 Depth=1
	s_or_b64 exec, exec, s[2:3]
	v_mul_lo_u32 v1, v4, s37
	v_mul_lo_u32 v6, v3, s36
	v_mad_u64_u32 v[4:5], s[2:3], v3, s37, 0
	v_add3_u32 v1, v5, v6, v1
	v_sub_co_u32_e32 v4, vcc, v10, v4
	v_subb_co_u32_e32 v1, vcc, v8, v1, vcc
	v_mul_lo_u32 v1, v1, s50
	v_mul_lo_u32 v5, v4, s42
	v_mad_u64_u32 v[6:7], s[2:3], v4, s50, 0
	v_mov_b32_e32 v4, v2
	v_add3_u32 v7, v7, v5, v1
	v_or_b32_e32 v5, s36, v7
	v_cmp_ne_u64_e32 vcc, 0, v[4:5]
                                        ; implicit-def: $vgpr4_vgpr5
	s_and_saveexec_b64 s[2:3], vcc
	s_xor_b64 s[4:5], exec, s[2:3]
	s_cbranch_execz .LBB0_21
; %bb.20:                               ;   in Loop: Header=BB0_15 Depth=1
	s_ashr_i32 s12, s36, 31
	s_add_u32 s2, s37, s12
	s_mov_b32 s13, s12
	s_addc_u32 s3, s36, s12
	s_xor_b64 s[16:17], s[2:3], s[12:13]
	v_cvt_f32_u32_e32 v1, s16
	v_cvt_f32_u32_e32 v4, s17
	s_sub_u32 s9, 0, s16
	s_subb_u32 s13, 0, s17
	v_mac_f32_e32 v1, 0x4f800000, v4
	v_rcp_f32_e32 v1, v1
	v_mul_f32_e32 v1, 0x5f7ffffc, v1
	v_mul_f32_e32 v4, 0x2f800000, v1
	v_trunc_f32_e32 v4, v4
	v_mac_f32_e32 v1, 0xcf800000, v4
	v_cvt_u32_f32_e32 v4, v4
	v_cvt_u32_f32_e32 v1, v1
	v_readfirstlane_b32 s26, v4
	v_readfirstlane_b32 s2, v1
	s_mul_i32 s3, s9, s26
	s_mul_hi_u32 s28, s9, s2
	s_mul_i32 s27, s13, s2
	s_add_i32 s3, s28, s3
	s_add_i32 s3, s3, s27
	s_mul_i32 s29, s9, s2
	s_mul_i32 s28, s2, s3
	s_mul_hi_u32 s30, s2, s29
	s_mul_hi_u32 s27, s2, s3
	s_add_u32 s28, s30, s28
	s_addc_u32 s27, 0, s27
	s_mul_hi_u32 s31, s26, s29
	s_mul_i32 s29, s26, s29
	s_add_u32 s28, s28, s29
	s_mul_hi_u32 s30, s26, s3
	s_addc_u32 s27, s27, s31
	s_addc_u32 s28, s30, 0
	s_mul_i32 s3, s26, s3
	s_add_u32 s3, s27, s3
	s_addc_u32 s27, 0, s28
	s_add_u32 s28, s2, s3
	s_cselect_b64 s[2:3], -1, 0
	s_cmp_lg_u64 s[2:3], 0
	s_addc_u32 s26, s26, s27
	s_mul_i32 s2, s9, s26
	s_mul_hi_u32 s3, s9, s28
	s_add_i32 s2, s3, s2
	s_mul_i32 s13, s13, s28
	s_add_i32 s2, s2, s13
	s_mul_i32 s9, s9, s28
	s_mul_hi_u32 s13, s26, s9
	s_mul_i32 s27, s26, s9
	s_mul_i32 s30, s28, s2
	s_mul_hi_u32 s9, s28, s9
	s_mul_hi_u32 s29, s28, s2
	s_add_u32 s9, s9, s30
	s_addc_u32 s29, 0, s29
	s_add_u32 s9, s9, s27
	s_mul_hi_u32 s3, s26, s2
	s_addc_u32 s9, s29, s13
	s_addc_u32 s3, s3, 0
	s_mul_i32 s2, s26, s2
	s_add_u32 s2, s9, s2
	s_addc_u32 s9, 0, s3
	s_add_u32 s13, s28, s2
	s_cselect_b64 s[2:3], -1, 0
	v_ashrrev_i32_e32 v1, 31, v7
	s_cmp_lg_u64 s[2:3], 0
	v_add_co_u32_e32 v4, vcc, v6, v1
	s_addc_u32 s9, s26, s9
	v_xor_b32_e32 v9, v4, v1
	v_addc_co_u32_e32 v6, vcc, v7, v1, vcc
	v_mad_u64_u32 v[4:5], s[2:3], v9, s9, 0
	v_mul_hi_u32 v7, v9, s13
	v_xor_b32_e32 v13, v6, v1
	v_xor_b32_e32 v1, s12, v1
	v_add_co_u32_e32 v14, vcc, v7, v4
	v_addc_co_u32_e32 v15, vcc, 0, v5, vcc
	v_mad_u64_u32 v[4:5], s[2:3], v13, s13, 0
	v_mad_u64_u32 v[6:7], s[2:3], v13, s9, 0
	v_add_co_u32_e32 v4, vcc, v14, v4
	v_addc_co_u32_e32 v4, vcc, v15, v5, vcc
	v_addc_co_u32_e32 v5, vcc, 0, v7, vcc
	v_add_co_u32_e32 v6, vcc, v4, v6
	v_addc_co_u32_e32 v4, vcc, 0, v5, vcc
	v_mul_lo_u32 v7, s17, v6
	v_mul_lo_u32 v14, s16, v4
	v_mad_u64_u32 v[4:5], s[2:3], s16, v6, 0
	v_add3_u32 v5, v5, v14, v7
	v_sub_u32_e32 v7, v13, v5
	v_mov_b32_e32 v14, s17
	v_sub_co_u32_e32 v4, vcc, v9, v4
	v_subb_co_u32_e64 v7, s[2:3], v7, v14, vcc
	v_subrev_co_u32_e64 v9, s[2:3], s16, v4
	v_subbrev_co_u32_e64 v7, s[2:3], 0, v7, s[2:3]
	v_cmp_le_u32_e64 s[2:3], s17, v7
	v_subb_co_u32_e32 v5, vcc, v13, v5, vcc
	v_cndmask_b32_e64 v14, 0, -1, s[2:3]
	v_cmp_le_u32_e64 s[2:3], s16, v9
	v_cmp_le_u32_e32 vcc, s17, v5
	v_cndmask_b32_e64 v9, 0, -1, s[2:3]
	v_cmp_eq_u32_e64 s[2:3], s17, v7
	v_cndmask_b32_e64 v13, 0, -1, vcc
	v_cmp_le_u32_e32 vcc, s16, v4
	v_cndmask_b32_e64 v7, v14, v9, s[2:3]
	v_cndmask_b32_e64 v4, 0, -1, vcc
	v_cmp_eq_u32_e32 vcc, s17, v5
	v_add_co_u32_e64 v9, s[2:3], 2, v6
	v_add_co_u32_e64 v14, s[2:3], 1, v6
	v_cndmask_b32_e32 v4, v13, v4, vcc
	v_cmp_ne_u32_e32 vcc, 0, v7
	v_cndmask_b32_e32 v5, v14, v9, vcc
	v_cmp_ne_u32_e32 vcc, 0, v4
	v_cndmask_b32_e32 v4, v6, v5, vcc
	v_xor_b32_e32 v4, v4, v1
	v_sub_co_u32_e32 v4, vcc, v4, v1
                                        ; implicit-def: $vgpr6_vgpr7
.LBB0_21:                               ;   in Loop: Header=BB0_15 Depth=1
	s_andn2_saveexec_b64 s[2:3], s[4:5]
	s_cbranch_execz .LBB0_23
; %bb.22:                               ;   in Loop: Header=BB0_15 Depth=1
	v_mul_hi_u32 v1, v6, v12
	v_mul_lo_u32 v4, v1, s37
	v_add_u32_e32 v5, 1, v1
	v_sub_u32_e32 v4, v6, v4
	v_subrev_u32_e32 v6, s37, v4
	v_cmp_le_u32_e32 vcc, s37, v4
	v_cndmask_b32_e32 v4, v4, v6, vcc
	v_cndmask_b32_e32 v1, v1, v5, vcc
	v_add_u32_e32 v5, 1, v1
	v_cmp_le_u32_e32 vcc, s37, v4
	v_cndmask_b32_e32 v4, v1, v5, vcc
.LBB0_23:                               ;   in Loop: Header=BB0_15 Depth=1
	s_or_b64 exec, exec, s[2:3]
	v_add_co_u32_e32 v1, vcc, 1, v10
	v_addc_co_u32_e32 v5, vcc, 0, v8, vcc
	v_mul_lo_u32 v7, v1, s42
	v_mul_lo_u32 v8, v5, s50
	v_mad_u64_u32 v[5:6], s[2:3], v1, s50, -1
	v_add3_u32 v6, v8, v6, v7
	v_or_b32_e32 v8, s36, v6
	v_mov_b32_e32 v7, v2
	v_cmp_ne_u64_e32 vcc, 0, v[7:8]
                                        ; implicit-def: $vgpr7_vgpr8
	s_and_saveexec_b64 s[2:3], vcc
	s_xor_b64 s[4:5], exec, s[2:3]
	s_cbranch_execnz .LBB0_26
; %bb.24:                               ;   in Loop: Header=BB0_15 Depth=1
	s_andn2_saveexec_b64 s[2:3], s[4:5]
	s_cbranch_execnz .LBB0_27
.LBB0_25:                               ;   in Loop: Header=BB0_15 Depth=1
	s_or_b64 exec, exec, s[2:3]
	s_and_saveexec_b64 s[12:13], s[0:1]
	s_cbranch_execz .LBB0_14
	s_branch .LBB0_28
.LBB0_26:                               ;   in Loop: Header=BB0_15 Depth=1
	s_ashr_i32 s12, s36, 31
	s_add_u32 s2, s37, s12
	s_mov_b32 s13, s12
	s_addc_u32 s3, s36, s12
	s_xor_b64 s[16:17], s[2:3], s[12:13]
	v_cvt_f32_u32_e32 v1, s16
	v_cvt_f32_u32_e32 v7, s17
	s_sub_u32 s9, 0, s16
	s_subb_u32 s13, 0, s17
	v_mac_f32_e32 v1, 0x4f800000, v7
	v_rcp_f32_e32 v1, v1
	v_mul_f32_e32 v1, 0x5f7ffffc, v1
	v_mul_f32_e32 v7, 0x2f800000, v1
	v_trunc_f32_e32 v7, v7
	v_mac_f32_e32 v1, 0xcf800000, v7
	v_cvt_u32_f32_e32 v7, v7
	v_cvt_u32_f32_e32 v1, v1
	v_readfirstlane_b32 s26, v7
	v_readfirstlane_b32 s2, v1
	s_mul_i32 s3, s9, s26
	s_mul_hi_u32 s28, s9, s2
	s_mul_i32 s27, s13, s2
	s_add_i32 s3, s28, s3
	s_add_i32 s3, s3, s27
	s_mul_i32 s29, s9, s2
	s_mul_i32 s28, s2, s3
	s_mul_hi_u32 s30, s2, s29
	s_mul_hi_u32 s27, s2, s3
	s_add_u32 s28, s30, s28
	s_addc_u32 s27, 0, s27
	s_mul_hi_u32 s31, s26, s29
	s_mul_i32 s29, s26, s29
	s_add_u32 s28, s28, s29
	s_mul_hi_u32 s30, s26, s3
	s_addc_u32 s27, s27, s31
	s_addc_u32 s28, s30, 0
	s_mul_i32 s3, s26, s3
	s_add_u32 s3, s27, s3
	s_addc_u32 s27, 0, s28
	s_add_u32 s28, s2, s3
	s_cselect_b64 s[2:3], -1, 0
	s_cmp_lg_u64 s[2:3], 0
	s_addc_u32 s26, s26, s27
	s_mul_i32 s2, s9, s26
	s_mul_hi_u32 s3, s9, s28
	s_add_i32 s2, s3, s2
	s_mul_i32 s13, s13, s28
	s_add_i32 s2, s2, s13
	s_mul_i32 s9, s9, s28
	s_mul_hi_u32 s13, s26, s9
	s_mul_i32 s27, s26, s9
	s_mul_i32 s30, s28, s2
	s_mul_hi_u32 s9, s28, s9
	s_mul_hi_u32 s29, s28, s2
	s_add_u32 s9, s9, s30
	s_addc_u32 s29, 0, s29
	s_add_u32 s9, s9, s27
	s_mul_hi_u32 s3, s26, s2
	s_addc_u32 s9, s29, s13
	s_addc_u32 s3, s3, 0
	s_mul_i32 s2, s26, s2
	s_add_u32 s2, s9, s2
	s_addc_u32 s9, 0, s3
	s_add_u32 s13, s28, s2
	s_cselect_b64 s[2:3], -1, 0
	v_ashrrev_i32_e32 v1, 31, v6
	s_cmp_lg_u64 s[2:3], 0
	v_add_co_u32_e32 v5, vcc, v5, v1
	s_addc_u32 s9, s26, s9
	v_xor_b32_e32 v9, v5, v1
	v_addc_co_u32_e32 v7, vcc, v6, v1, vcc
	v_mad_u64_u32 v[5:6], s[2:3], v9, s9, 0
	v_mul_hi_u32 v8, v9, s13
	v_xor_b32_e32 v13, v7, v1
	v_xor_b32_e32 v1, s12, v1
	v_add_co_u32_e32 v14, vcc, v8, v5
	v_addc_co_u32_e32 v15, vcc, 0, v6, vcc
	v_mad_u64_u32 v[5:6], s[2:3], v13, s13, 0
	v_mad_u64_u32 v[7:8], s[2:3], v13, s9, 0
	v_add_co_u32_e32 v5, vcc, v14, v5
	v_addc_co_u32_e32 v5, vcc, v15, v6, vcc
	v_addc_co_u32_e32 v6, vcc, 0, v8, vcc
	v_add_co_u32_e32 v7, vcc, v5, v7
	v_addc_co_u32_e32 v5, vcc, 0, v6, vcc
	v_mul_lo_u32 v8, s17, v7
	v_mul_lo_u32 v14, s16, v5
	v_mad_u64_u32 v[5:6], s[2:3], s16, v7, 0
	v_add3_u32 v6, v6, v14, v8
	v_sub_u32_e32 v8, v13, v6
	v_mov_b32_e32 v14, s17
	v_sub_co_u32_e32 v5, vcc, v9, v5
	v_subb_co_u32_e64 v8, s[2:3], v8, v14, vcc
	v_subrev_co_u32_e64 v9, s[2:3], s16, v5
	v_subbrev_co_u32_e64 v8, s[2:3], 0, v8, s[2:3]
	v_cmp_le_u32_e64 s[2:3], s17, v8
	v_subb_co_u32_e32 v6, vcc, v13, v6, vcc
	v_cndmask_b32_e64 v14, 0, -1, s[2:3]
	v_cmp_le_u32_e64 s[2:3], s16, v9
	v_cmp_le_u32_e32 vcc, s17, v6
	v_cndmask_b32_e64 v9, 0, -1, s[2:3]
	v_cmp_eq_u32_e64 s[2:3], s17, v8
	v_cndmask_b32_e64 v13, 0, -1, vcc
	v_cmp_le_u32_e32 vcc, s16, v5
	v_cndmask_b32_e64 v8, v14, v9, s[2:3]
	v_cndmask_b32_e64 v5, 0, -1, vcc
	v_cmp_eq_u32_e32 vcc, s17, v6
	v_add_co_u32_e64 v9, s[2:3], 2, v7
	v_add_co_u32_e64 v14, s[2:3], 1, v7
	v_cndmask_b32_e32 v5, v13, v5, vcc
	v_cmp_ne_u32_e32 vcc, 0, v8
	v_cndmask_b32_e32 v6, v14, v9, vcc
	v_cmp_ne_u32_e32 vcc, 0, v5
	v_cndmask_b32_e32 v5, v7, v6, vcc
	v_xor_b32_e32 v5, v5, v1
	v_sub_co_u32_e32 v7, vcc, v5, v1
                                        ; implicit-def: $vgpr5_vgpr6
	s_andn2_saveexec_b64 s[2:3], s[4:5]
	s_cbranch_execz .LBB0_25
.LBB0_27:                               ;   in Loop: Header=BB0_15 Depth=1
	v_mul_hi_u32 v1, v5, v12
	v_mul_lo_u32 v6, v1, s37
	v_add_u32_e32 v7, 1, v1
	v_sub_u32_e32 v5, v5, v6
	v_subrev_u32_e32 v6, s37, v5
	v_cmp_le_u32_e32 vcc, s37, v5
	v_cndmask_b32_e32 v5, v5, v6, vcc
	v_cndmask_b32_e32 v1, v1, v7, vcc
	v_add_u32_e32 v6, 1, v1
	v_cmp_le_u32_e32 vcc, s37, v5
	v_cndmask_b32_e32 v7, v1, v6, vcc
	s_or_b64 exec, exec, s[2:3]
	s_and_saveexec_b64 s[12:13], s[0:1]
	s_cbranch_execz .LBB0_14
.LBB0_28:                               ;   in Loop: Header=BB0_15 Depth=1
	v_mad_u64_u32 v[3:4], s[2:3], v3, s50, v[4:5]
	v_mul_lo_u32 v4, v10, s25
	s_mov_b64 s[16:17], 0
	v_sub_u32_e32 v1, v7, v3
	v_add_u32_e32 v13, 1, v1
	v_ashrrev_i32_e32 v5, 31, v4
	v_lshlrev_b64 v[4:5], 3, v[4:5]
	v_mov_b32_e32 v1, s40
	v_add_co_u32_e32 v14, vcc, s39, v4
	v_addc_co_u32_e32 v15, vcc, v1, v5, vcc
	v_cmp_lt_i32_e64 s[2:3], 0, v13
	v_mov_b32_e32 v1, v0
	s_branch .LBB0_31
.LBB0_29:                               ;   in Loop: Header=BB0_31 Depth=2
	v_mov_b32_e32 v4, 0
	v_mov_b32_e32 v5, 0
.LBB0_30:                               ;   in Loop: Header=BB0_31 Depth=2
	v_mul_lo_u32 v6, v13, s33
	v_mul_lo_u32 v6, v6, v7
	v_cvt_f64_i32_e32 v[6:7], v6
	v_div_scale_f64 v[8:9], s[4:5], v[6:7], v[6:7], v[4:5]
	v_div_scale_f64 v[20:21], vcc, v[4:5], v[6:7], v[4:5]
	v_rcp_f64_e32 v[16:17], v[8:9]
	v_fma_f64 v[18:19], -v[8:9], v[16:17], 1.0
	v_fma_f64 v[16:17], v[16:17], v[18:19], v[16:17]
	v_fma_f64 v[18:19], -v[8:9], v[16:17], 1.0
	v_fma_f64 v[16:17], v[16:17], v[18:19], v[16:17]
	v_mul_f64 v[18:19], v[20:21], v[16:17]
	v_fma_f64 v[8:9], -v[8:9], v[18:19], v[20:21]
	v_div_fmas_f64 v[8:9], v[8:9], v[16:17], v[18:19]
	v_lshlrev_b64 v[16:17], 3, v[1:2]
	v_add_u32_e32 v1, s41, v1
	v_div_fixup_f64 v[4:5], v[8:9], v[6:7], v[4:5]
	v_add_co_u32_e32 v6, vcc, v14, v16
	v_addc_co_u32_e32 v7, vcc, v15, v17, vcc
	v_cmp_le_i32_e32 vcc, s25, v1
	s_or_b64 s[16:17], vcc, s[16:17]
	global_store_dwordx2 v[6:7], v[4:5], off
	s_andn2_b64 exec, exec, s[16:17]
	s_cbranch_execz .LBB0_14
.LBB0_31:                               ;   Parent Loop BB0_15 Depth=1
                                        ; =>  This Loop Header: Depth=2
                                        ;       Child Loop BB0_47 Depth 3
                                        ;         Child Loop BB0_50 Depth 4
                                        ;           Child Loop BB0_52 Depth 5
	s_mov_b32 s9, s38
	s_cmp_lg_u64 s[8:9], 0
	s_cselect_b64 s[4:5], -1, 0
                                        ; implicit-def: $vgpr4_vgpr5
	s_and_saveexec_b64 s[26:27], s[4:5]
	s_xor_b64 s[26:27], exec, s[26:27]
	s_cbranch_execz .LBB0_33
; %bb.32:                               ;   in Loop: Header=BB0_31 Depth=2
	s_ashr_i32 s28, s38, 31
	s_add_u32 s4, s48, s28
	s_mov_b32 s29, s28
	s_addc_u32 s5, s38, s28
	s_xor_b64 s[30:31], s[4:5], s[28:29]
	v_cvt_f32_u32_e32 v4, s30
	v_cvt_f32_u32_e32 v5, s31
	s_sub_u32 s9, 0, s30
	s_subb_u32 s29, 0, s31
	v_add_co_u32_e32 v8, vcc, 0, v1
	v_mac_f32_e32 v4, 0x4f800000, v5
	v_rcp_f32_e32 v4, v4
	v_mul_f32_e32 v4, 0x5f7ffffc, v4
	v_mul_f32_e32 v5, 0x2f800000, v4
	v_trunc_f32_e32 v5, v5
	v_mac_f32_e32 v4, 0xcf800000, v5
	v_cvt_u32_f32_e32 v5, v5
	v_cvt_u32_f32_e32 v4, v4
	v_readfirstlane_b32 s34, v5
	v_readfirstlane_b32 s4, v4
	s_mul_i32 s5, s9, s34
	s_mul_hi_u32 s51, s9, s4
	s_mul_i32 s35, s29, s4
	s_add_i32 s5, s51, s5
	s_add_i32 s5, s5, s35
	s_mul_i32 s52, s9, s4
	s_mul_i32 s51, s4, s5
	s_mul_hi_u32 s53, s4, s52
	s_mul_hi_u32 s35, s4, s5
	s_add_u32 s51, s53, s51
	s_addc_u32 s35, 0, s35
	s_mul_hi_u32 s54, s34, s52
	s_mul_i32 s52, s34, s52
	s_add_u32 s51, s51, s52
	s_mul_hi_u32 s53, s34, s5
	s_addc_u32 s35, s35, s54
	s_addc_u32 s51, s53, 0
	s_mul_i32 s5, s34, s5
	s_add_u32 s5, s35, s5
	s_addc_u32 s35, 0, s51
	s_add_u32 s51, s4, s5
	s_cselect_b64 s[4:5], -1, 0
	s_cmp_lg_u64 s[4:5], 0
	s_addc_u32 s34, s34, s35
	s_mul_i32 s4, s9, s34
	s_mul_hi_u32 s5, s9, s51
	s_add_i32 s4, s5, s4
	s_mul_i32 s29, s29, s51
	s_add_i32 s4, s4, s29
	s_mul_i32 s9, s9, s51
	s_mul_hi_u32 s29, s34, s9
	s_mul_i32 s35, s34, s9
	s_mul_i32 s53, s51, s4
	s_mul_hi_u32 s9, s51, s9
	s_mul_hi_u32 s52, s51, s4
	s_add_u32 s9, s9, s53
	s_addc_u32 s52, 0, s52
	s_add_u32 s9, s9, s35
	s_mul_hi_u32 s5, s34, s4
	s_addc_u32 s9, s52, s29
	s_addc_u32 s5, s5, 0
	s_mul_i32 s4, s34, s4
	s_add_u32 s4, s9, s4
	s_addc_u32 s9, 0, s5
	s_add_u32 s29, s51, s4
	s_cselect_b64 s[4:5], -1, 0
	s_cmp_lg_u64 s[4:5], 0
	s_addc_u32 s9, s34, s9
	v_mad_u64_u32 v[4:5], s[4:5], v8, s9, 0
	v_mul_hi_u32 v6, v8, s29
	v_addc_co_u32_e64 v9, s[4:5], 0, 0, vcc
	v_add_co_u32_e32 v16, vcc, v6, v4
	v_addc_co_u32_e32 v17, vcc, 0, v5, vcc
	v_mad_u64_u32 v[4:5], s[4:5], v9, s29, 0
	v_mad_u64_u32 v[6:7], s[4:5], v9, s9, 0
	v_add_co_u32_e32 v4, vcc, v16, v4
	v_addc_co_u32_e32 v4, vcc, v17, v5, vcc
	v_addc_co_u32_e32 v5, vcc, 0, v7, vcc
	v_add_co_u32_e32 v6, vcc, v4, v6
	v_addc_co_u32_e32 v7, vcc, 0, v5, vcc
	v_mul_lo_u32 v16, s31, v6
	v_mul_lo_u32 v17, s30, v7
	v_mad_u64_u32 v[4:5], s[4:5], s30, v6, 0
	v_add3_u32 v5, v5, v17, v16
	v_sub_u32_e32 v16, v9, v5
	v_mov_b32_e32 v17, s31
	v_sub_co_u32_e32 v4, vcc, v8, v4
	v_subb_co_u32_e64 v8, s[4:5], v16, v17, vcc
	v_subrev_co_u32_e64 v16, s[4:5], s30, v4
	v_subbrev_co_u32_e64 v8, s[4:5], 0, v8, s[4:5]
	v_cmp_le_u32_e64 s[4:5], s31, v8
	v_cndmask_b32_e64 v17, 0, -1, s[4:5]
	v_cmp_le_u32_e64 s[4:5], s30, v16
	v_cndmask_b32_e64 v16, 0, -1, s[4:5]
	v_cmp_eq_u32_e64 s[4:5], s31, v8
	v_cndmask_b32_e64 v8, v17, v16, s[4:5]
	v_add_co_u32_e64 v16, s[4:5], 2, v6
	v_subb_co_u32_e32 v5, vcc, v9, v5, vcc
	v_addc_co_u32_e64 v17, s[4:5], 0, v7, s[4:5]
	v_cmp_le_u32_e32 vcc, s31, v5
	v_add_co_u32_e64 v18, s[4:5], 1, v6
	v_cndmask_b32_e64 v9, 0, -1, vcc
	v_cmp_le_u32_e32 vcc, s30, v4
	v_addc_co_u32_e64 v19, s[4:5], 0, v7, s[4:5]
	v_cndmask_b32_e64 v4, 0, -1, vcc
	v_cmp_eq_u32_e32 vcc, s31, v5
	v_cmp_ne_u32_e64 s[4:5], 0, v8
	v_cndmask_b32_e32 v4, v9, v4, vcc
	v_cndmask_b32_e64 v8, v19, v17, s[4:5]
	v_cmp_ne_u32_e32 vcc, 0, v4
	v_cndmask_b32_e64 v5, v18, v16, s[4:5]
	v_cndmask_b32_e32 v4, v7, v8, vcc
	v_cndmask_b32_e32 v5, v6, v5, vcc
	v_xor_b32_e32 v6, s28, v4
	v_xor_b32_e32 v4, s28, v5
	v_mov_b32_e32 v5, s28
	v_subrev_co_u32_e32 v4, vcc, s28, v4
	v_subb_co_u32_e32 v5, vcc, v6, v5, vcc
.LBB0_33:                               ;   in Loop: Header=BB0_31 Depth=2
	s_andn2_saveexec_b64 s[4:5], s[26:27]
	s_cbranch_execz .LBB0_35
; %bb.34:                               ;   in Loop: Header=BB0_31 Depth=2
	v_cvt_f32_u32_e32 v4, s48
	s_sub_i32 s9, 0, s48
	v_rcp_iflag_f32_e32 v4, v4
	v_mul_f32_e32 v4, 0x4f7ffffe, v4
	v_cvt_u32_f32_e32 v4, v4
	v_mul_lo_u32 v5, s9, v4
	v_mul_hi_u32 v5, v4, v5
	v_add_u32_e32 v4, v4, v5
	v_mul_hi_u32 v4, v1, v4
	v_mul_lo_u32 v5, v4, s48
	v_add_u32_e32 v6, 1, v4
	v_sub_u32_e32 v5, v1, v5
	v_subrev_u32_e32 v7, s48, v5
	v_cmp_le_u32_e32 vcc, s48, v5
	v_cndmask_b32_e32 v5, v5, v7, vcc
	v_cndmask_b32_e32 v4, v4, v6, vcc
	v_add_u32_e32 v6, 1, v4
	v_cmp_le_u32_e32 vcc, s48, v5
	v_cndmask_b32_e32 v4, v4, v6, vcc
	v_mov_b32_e32 v5, v2
.LBB0_35:                               ;   in Loop: Header=BB0_31 Depth=2
	s_or_b64 exec, exec, s[4:5]
	v_mul_lo_u32 v7, v5, s48
	v_mul_lo_u32 v8, v4, s38
	v_mad_u64_u32 v[5:6], s[4:5], v4, s48, 0
	v_add3_u32 v6, v6, v8, v7
	v_sub_co_u32_e32 v5, vcc, v1, v5
	v_subb_co_u32_e32 v6, vcc, 0, v6, vcc
	v_mul_lo_u32 v6, v6, s18
	v_mul_lo_u32 v9, v5, s43
	v_mad_u64_u32 v[7:8], s[4:5], v5, s18, 0
	v_mov_b32_e32 v5, v2
	v_add3_u32 v8, v8, v9, v6
	v_or_b32_e32 v6, s38, v8
	v_cmp_ne_u64_e32 vcc, 0, v[5:6]
                                        ; implicit-def: $vgpr5_vgpr6
	s_and_saveexec_b64 s[4:5], vcc
	s_xor_b64 s[26:27], exec, s[4:5]
	s_cbranch_execz .LBB0_37
; %bb.36:                               ;   in Loop: Header=BB0_31 Depth=2
	s_ashr_i32 s28, s38, 31
	s_add_u32 s4, s48, s28
	s_mov_b32 s29, s28
	s_addc_u32 s5, s38, s28
	s_xor_b64 s[30:31], s[4:5], s[28:29]
	v_cvt_f32_u32_e32 v5, s30
	v_cvt_f32_u32_e32 v6, s31
	s_sub_u32 s9, 0, s30
	s_subb_u32 s29, 0, s31
	v_ashrrev_i32_e32 v9, 31, v8
	v_mac_f32_e32 v5, 0x4f800000, v6
	v_rcp_f32_e32 v5, v5
	v_mul_f32_e32 v5, 0x5f7ffffc, v5
	v_mul_f32_e32 v6, 0x2f800000, v5
	v_trunc_f32_e32 v6, v6
	v_mac_f32_e32 v5, 0xcf800000, v6
	v_cvt_u32_f32_e32 v6, v6
	v_cvt_u32_f32_e32 v5, v5
	v_readfirstlane_b32 s34, v6
	v_readfirstlane_b32 s4, v5
	s_mul_i32 s5, s9, s34
	s_mul_hi_u32 s51, s9, s4
	s_mul_i32 s35, s29, s4
	s_add_i32 s5, s51, s5
	s_add_i32 s5, s5, s35
	s_mul_i32 s52, s9, s4
	s_mul_i32 s51, s4, s5
	s_mul_hi_u32 s53, s4, s52
	s_mul_hi_u32 s35, s4, s5
	s_add_u32 s51, s53, s51
	s_addc_u32 s35, 0, s35
	s_mul_hi_u32 s54, s34, s52
	s_mul_i32 s52, s34, s52
	s_add_u32 s51, s51, s52
	s_mul_hi_u32 s53, s34, s5
	s_addc_u32 s35, s35, s54
	s_addc_u32 s51, s53, 0
	s_mul_i32 s5, s34, s5
	s_add_u32 s5, s35, s5
	s_addc_u32 s35, 0, s51
	s_add_u32 s51, s4, s5
	s_cselect_b64 s[4:5], -1, 0
	s_cmp_lg_u64 s[4:5], 0
	s_addc_u32 s34, s34, s35
	s_mul_i32 s4, s9, s34
	s_mul_hi_u32 s5, s9, s51
	s_add_i32 s4, s5, s4
	s_mul_i32 s29, s29, s51
	s_add_i32 s4, s4, s29
	s_mul_i32 s9, s9, s51
	s_mul_hi_u32 s29, s34, s9
	s_mul_i32 s35, s34, s9
	s_mul_i32 s53, s51, s4
	s_mul_hi_u32 s9, s51, s9
	s_mul_hi_u32 s52, s51, s4
	s_add_u32 s9, s9, s53
	s_addc_u32 s52, 0, s52
	s_add_u32 s9, s9, s35
	s_mul_hi_u32 s5, s34, s4
	s_addc_u32 s9, s52, s29
	s_addc_u32 s5, s5, 0
	s_mul_i32 s4, s34, s4
	s_add_u32 s4, s9, s4
	s_addc_u32 s9, 0, s5
	s_add_u32 s29, s51, s4
	s_cselect_b64 s[4:5], -1, 0
	s_cmp_lg_u64 s[4:5], 0
	v_add_co_u32_e32 v5, vcc, v7, v9
	s_addc_u32 s9, s34, s9
	v_xor_b32_e32 v16, v5, v9
	v_addc_co_u32_e32 v7, vcc, v8, v9, vcc
	v_mad_u64_u32 v[5:6], s[4:5], v16, s9, 0
	v_mul_hi_u32 v8, v16, s29
	v_xor_b32_e32 v17, v7, v9
	v_add_co_u32_e32 v18, vcc, v8, v5
	v_addc_co_u32_e32 v19, vcc, 0, v6, vcc
	v_mad_u64_u32 v[5:6], s[4:5], v17, s29, 0
	v_mad_u64_u32 v[7:8], s[4:5], v17, s9, 0
	v_add_co_u32_e32 v5, vcc, v18, v5
	v_addc_co_u32_e32 v5, vcc, v19, v6, vcc
	v_addc_co_u32_e32 v6, vcc, 0, v8, vcc
	v_add_co_u32_e32 v7, vcc, v5, v7
	v_addc_co_u32_e32 v5, vcc, 0, v6, vcc
	v_mul_lo_u32 v8, s31, v7
	v_mul_lo_u32 v18, s30, v5
	v_mad_u64_u32 v[5:6], s[4:5], s30, v7, 0
	v_add3_u32 v6, v6, v18, v8
	v_sub_u32_e32 v8, v17, v6
	v_mov_b32_e32 v18, s31
	v_sub_co_u32_e32 v5, vcc, v16, v5
	v_subb_co_u32_e64 v8, s[4:5], v8, v18, vcc
	v_subrev_co_u32_e64 v16, s[4:5], s30, v5
	v_subbrev_co_u32_e64 v8, s[4:5], 0, v8, s[4:5]
	v_cmp_le_u32_e64 s[4:5], s31, v8
	v_subb_co_u32_e32 v6, vcc, v17, v6, vcc
	v_cndmask_b32_e64 v18, 0, -1, s[4:5]
	v_cmp_le_u32_e64 s[4:5], s30, v16
	v_cmp_le_u32_e32 vcc, s31, v6
	v_cndmask_b32_e64 v16, 0, -1, s[4:5]
	v_cmp_eq_u32_e64 s[4:5], s31, v8
	v_cndmask_b32_e64 v17, 0, -1, vcc
	v_cmp_le_u32_e32 vcc, s30, v5
	v_cndmask_b32_e64 v8, v18, v16, s[4:5]
	v_cndmask_b32_e64 v5, 0, -1, vcc
	v_cmp_eq_u32_e32 vcc, s31, v6
	v_add_co_u32_e64 v16, s[4:5], 2, v7
	v_add_co_u32_e64 v18, s[4:5], 1, v7
	v_cndmask_b32_e32 v5, v17, v5, vcc
	v_cmp_ne_u32_e32 vcc, 0, v8
	v_cndmask_b32_e32 v6, v18, v16, vcc
	v_cmp_ne_u32_e32 vcc, 0, v5
	v_cndmask_b32_e32 v5, v7, v6, vcc
	v_xor_b32_e32 v6, s28, v9
	v_xor_b32_e32 v5, v5, v6
	v_sub_co_u32_e32 v5, vcc, v5, v6
                                        ; implicit-def: $vgpr7_vgpr8
.LBB0_37:                               ;   in Loop: Header=BB0_31 Depth=2
	s_andn2_saveexec_b64 s[4:5], s[26:27]
	s_cbranch_execz .LBB0_39
; %bb.38:                               ;   in Loop: Header=BB0_31 Depth=2
	v_cvt_f32_u32_e32 v5, s48
	s_sub_i32 s9, 0, s48
	v_rcp_iflag_f32_e32 v5, v5
	v_mul_f32_e32 v5, 0x4f7ffffe, v5
	v_cvt_u32_f32_e32 v5, v5
	v_mul_lo_u32 v6, s9, v5
	v_mul_hi_u32 v6, v5, v6
	v_add_u32_e32 v5, v5, v6
	v_mul_hi_u32 v5, v7, v5
	v_mul_lo_u32 v6, v5, s48
	v_add_u32_e32 v8, 1, v5
	v_sub_u32_e32 v6, v7, v6
	v_subrev_u32_e32 v7, s48, v6
	v_cmp_le_u32_e32 vcc, s48, v6
	v_cndmask_b32_e32 v6, v6, v7, vcc
	v_cndmask_b32_e32 v5, v5, v8, vcc
	v_add_u32_e32 v7, 1, v5
	v_cmp_le_u32_e32 vcc, s48, v6
	v_cndmask_b32_e32 v5, v5, v7, vcc
.LBB0_39:                               ;   in Loop: Header=BB0_31 Depth=2
	s_or_b64 exec, exec, s[4:5]
	v_add_u32_e32 v8, 1, v1
	v_mad_u64_u32 v[6:7], s[4:5], v8, s18, -1
	v_mad_u64_u32 v[7:8], s[4:5], v8, s43, v[7:8]
	v_mov_b32_e32 v8, v2
	v_or_b32_e32 v9, s38, v7
	v_cmp_ne_u64_e32 vcc, 0, v[8:9]
                                        ; implicit-def: $vgpr8_vgpr9
	s_and_saveexec_b64 s[4:5], vcc
	s_xor_b64 s[26:27], exec, s[4:5]
	s_cbranch_execz .LBB0_41
; %bb.40:                               ;   in Loop: Header=BB0_31 Depth=2
	s_ashr_i32 s28, s38, 31
	s_add_u32 s4, s48, s28
	s_mov_b32 s29, s28
	s_addc_u32 s5, s38, s28
	s_xor_b64 s[30:31], s[4:5], s[28:29]
	v_cvt_f32_u32_e32 v8, s30
	v_cvt_f32_u32_e32 v9, s31
	s_sub_u32 s9, 0, s30
	s_subb_u32 s29, 0, s31
	v_ashrrev_i32_e32 v16, 31, v7
	v_mac_f32_e32 v8, 0x4f800000, v9
	v_rcp_f32_e32 v8, v8
	v_add_co_u32_e32 v6, vcc, v6, v16
	v_xor_b32_e32 v17, v6, v16
	v_mul_f32_e32 v8, 0x5f7ffffc, v8
	v_mul_f32_e32 v9, 0x2f800000, v8
	v_trunc_f32_e32 v9, v9
	v_mac_f32_e32 v8, 0xcf800000, v9
	v_cvt_u32_f32_e32 v9, v9
	v_cvt_u32_f32_e32 v8, v8
	v_readfirstlane_b32 s34, v9
	v_readfirstlane_b32 s4, v8
	s_mul_i32 s5, s9, s34
	s_mul_hi_u32 s51, s9, s4
	s_mul_i32 s35, s29, s4
	s_add_i32 s5, s51, s5
	s_add_i32 s5, s5, s35
	s_mul_i32 s52, s9, s4
	s_mul_i32 s51, s4, s5
	s_mul_hi_u32 s53, s4, s52
	s_mul_hi_u32 s35, s4, s5
	s_add_u32 s51, s53, s51
	s_addc_u32 s35, 0, s35
	s_mul_hi_u32 s54, s34, s52
	s_mul_i32 s52, s34, s52
	s_add_u32 s51, s51, s52
	s_mul_hi_u32 s53, s34, s5
	s_addc_u32 s35, s35, s54
	s_addc_u32 s51, s53, 0
	s_mul_i32 s5, s34, s5
	s_add_u32 s5, s35, s5
	s_addc_u32 s35, 0, s51
	s_add_u32 s51, s4, s5
	s_cselect_b64 s[4:5], -1, 0
	s_cmp_lg_u64 s[4:5], 0
	s_addc_u32 s34, s34, s35
	s_mul_i32 s4, s9, s34
	s_mul_hi_u32 s5, s9, s51
	s_add_i32 s4, s5, s4
	s_mul_i32 s29, s29, s51
	s_add_i32 s4, s4, s29
	s_mul_i32 s9, s9, s51
	s_mul_hi_u32 s29, s34, s9
	s_mul_i32 s35, s34, s9
	s_mul_i32 s53, s51, s4
	s_mul_hi_u32 s9, s51, s9
	s_mul_hi_u32 s52, s51, s4
	s_add_u32 s9, s9, s53
	s_addc_u32 s52, 0, s52
	s_add_u32 s9, s9, s35
	s_mul_hi_u32 s5, s34, s4
	s_addc_u32 s9, s52, s29
	s_addc_u32 s5, s5, 0
	s_mul_i32 s4, s34, s4
	s_add_u32 s4, s9, s4
	s_addc_u32 s9, 0, s5
	s_add_u32 s29, s51, s4
	s_cselect_b64 s[4:5], -1, 0
	s_cmp_lg_u64 s[4:5], 0
	s_addc_u32 s9, s34, s9
	v_addc_co_u32_e32 v8, vcc, v7, v16, vcc
	v_mad_u64_u32 v[6:7], s[4:5], v17, s9, 0
	v_mul_hi_u32 v9, v17, s29
	v_xor_b32_e32 v18, v8, v16
	v_add_co_u32_e32 v19, vcc, v9, v6
	v_addc_co_u32_e32 v20, vcc, 0, v7, vcc
	v_mad_u64_u32 v[6:7], s[4:5], v18, s29, 0
	v_mad_u64_u32 v[8:9], s[4:5], v18, s9, 0
	v_add_co_u32_e32 v6, vcc, v19, v6
	v_addc_co_u32_e32 v6, vcc, v20, v7, vcc
	v_addc_co_u32_e32 v7, vcc, 0, v9, vcc
	v_add_co_u32_e32 v8, vcc, v6, v8
	v_addc_co_u32_e32 v6, vcc, 0, v7, vcc
	v_mul_lo_u32 v9, s31, v8
	v_mul_lo_u32 v19, s30, v6
	v_mad_u64_u32 v[6:7], s[4:5], s30, v8, 0
	v_add3_u32 v7, v7, v19, v9
	v_sub_u32_e32 v9, v18, v7
	v_mov_b32_e32 v19, s31
	v_sub_co_u32_e32 v6, vcc, v17, v6
	v_subb_co_u32_e64 v9, s[4:5], v9, v19, vcc
	v_subrev_co_u32_e64 v17, s[4:5], s30, v6
	v_subbrev_co_u32_e64 v9, s[4:5], 0, v9, s[4:5]
	v_cmp_le_u32_e64 s[4:5], s31, v9
	v_subb_co_u32_e32 v7, vcc, v18, v7, vcc
	v_cndmask_b32_e64 v19, 0, -1, s[4:5]
	v_cmp_le_u32_e64 s[4:5], s30, v17
	v_cmp_le_u32_e32 vcc, s31, v7
	v_cndmask_b32_e64 v17, 0, -1, s[4:5]
	v_cmp_eq_u32_e64 s[4:5], s31, v9
	v_cndmask_b32_e64 v18, 0, -1, vcc
	v_cmp_le_u32_e32 vcc, s30, v6
	v_cndmask_b32_e64 v9, v19, v17, s[4:5]
	v_cndmask_b32_e64 v6, 0, -1, vcc
	v_cmp_eq_u32_e32 vcc, s31, v7
	v_add_co_u32_e64 v17, s[4:5], 2, v8
	v_add_co_u32_e64 v19, s[4:5], 1, v8
	v_cndmask_b32_e32 v6, v18, v6, vcc
	v_cmp_ne_u32_e32 vcc, 0, v9
	v_cndmask_b32_e32 v7, v19, v17, vcc
	v_cmp_ne_u32_e32 vcc, 0, v6
	v_cndmask_b32_e32 v6, v8, v7, vcc
	v_xor_b32_e32 v7, s28, v16
	v_xor_b32_e32 v6, v6, v7
	v_sub_co_u32_e32 v8, vcc, v6, v7
                                        ; implicit-def: $vgpr6_vgpr7
.LBB0_41:                               ;   in Loop: Header=BB0_31 Depth=2
	s_andn2_saveexec_b64 s[4:5], s[26:27]
	s_cbranch_execz .LBB0_43
; %bb.42:                               ;   in Loop: Header=BB0_31 Depth=2
	v_cvt_f32_u32_e32 v7, s48
	s_sub_i32 s9, 0, s48
	v_rcp_iflag_f32_e32 v7, v7
	v_mul_f32_e32 v7, 0x4f7ffffe, v7
	v_cvt_u32_f32_e32 v7, v7
	v_mul_lo_u32 v8, s9, v7
	v_mul_hi_u32 v8, v7, v8
	v_add_u32_e32 v7, v7, v8
	v_mul_hi_u32 v7, v6, v7
	v_mul_lo_u32 v8, v7, s48
	v_add_u32_e32 v9, 1, v7
	v_sub_u32_e32 v6, v6, v8
	v_subrev_u32_e32 v8, s48, v6
	v_cmp_le_u32_e32 vcc, s48, v6
	v_cndmask_b32_e32 v6, v6, v8, vcc
	v_cndmask_b32_e32 v7, v7, v9, vcc
	v_add_u32_e32 v8, 1, v7
	v_cmp_le_u32_e32 vcc, s48, v6
	v_cndmask_b32_e32 v8, v7, v8, vcc
.LBB0_43:                               ;   in Loop: Header=BB0_31 Depth=2
	s_or_b64 exec, exec, s[4:5]
	v_mad_u64_u32 v[6:7], s[4:5], v4, s18, v[5:6]
	s_andn2_b64 vcc, exec, s[6:7]
	v_sub_u32_e32 v4, v8, v6
	v_add_u32_e32 v7, 1, v4
	s_cbranch_vccnz .LBB0_29
; %bb.44:                               ;   in Loop: Header=BB0_31 Depth=2
	v_mov_b32_e32 v4, 0
	s_mov_b32 s9, 0
	v_mov_b32_e32 v5, 0
	v_cmp_lt_i32_e32 vcc, 0, v7
	s_branch .LBB0_47
.LBB0_45:                               ;   in Loop: Header=BB0_47 Depth=3
	s_or_b64 exec, exec, s[28:29]
.LBB0_46:                               ;   in Loop: Header=BB0_47 Depth=3
	s_or_b64 exec, exec, s[26:27]
	s_add_i32 s9, s9, 1
	s_cmp_lt_i32 s9, s33
	s_cbranch_scc0 .LBB0_30
.LBB0_47:                               ;   Parent Loop BB0_15 Depth=1
                                        ;     Parent Loop BB0_31 Depth=2
                                        ; =>    This Loop Header: Depth=3
                                        ;         Child Loop BB0_50 Depth 4
                                        ;           Child Loop BB0_52 Depth 5
	s_and_saveexec_b64 s[26:27], s[2:3]
	s_cbranch_execz .LBB0_46
; %bb.48:                               ;   in Loop: Header=BB0_47 Depth=3
	s_add_i32 s4, s9, s19
	s_ashr_i32 s5, s4, 31
	s_mul_i32 s5, s14, s5
	s_mul_hi_u32 s28, s14, s4
	s_add_i32 s5, s28, s5
	s_mul_i32 s28, s15, s4
	s_add_i32 s5, s5, s28
	s_mul_i32 s4, s14, s4
	s_lshl_b64 s[4:5], s[4:5], 3
	s_add_u32 s51, s44, s4
	s_addc_u32 s52, s45, s5
	s_mov_b32 s53, 0
	s_mov_b64 s[28:29], 0
	s_branch .LBB0_50
.LBB0_49:                               ;   in Loop: Header=BB0_50 Depth=4
	s_or_b64 exec, exec, s[30:31]
	s_add_i32 s53, s53, 1
	v_cmp_ge_i32_e64 s[4:5], s53, v13
	s_or_b64 s[28:29], s[4:5], s[28:29]
	s_andn2_b64 exec, exec, s[28:29]
	s_cbranch_execz .LBB0_45
.LBB0_50:                               ;   Parent Loop BB0_15 Depth=1
                                        ;     Parent Loop BB0_31 Depth=2
                                        ;       Parent Loop BB0_47 Depth=3
                                        ; =>      This Loop Header: Depth=4
                                        ;           Child Loop BB0_52 Depth 5
	s_and_saveexec_b64 s[30:31], vcc
	s_cbranch_execz .LBB0_49
; %bb.51:                               ;   in Loop: Header=BB0_50 Depth=4
	v_add_u32_e32 v8, s53, v3
	v_ashrrev_i32_e32 v16, 31, v8
	v_mul_lo_u32 v17, s21, v8
	v_mad_u64_u32 v[8:9], s[4:5], s20, v8, 0
	v_mul_lo_u32 v16, s20, v16
	s_mov_b32 s54, 0
	s_mov_b64 s[34:35], 0
	v_add3_u32 v9, v9, v16, v17
	v_lshlrev_b64 v[8:9], 3, v[8:9]
	v_mov_b32_e32 v16, s52
	v_add_co_u32_e64 v8, s[4:5], s51, v8
	v_addc_co_u32_e64 v9, s[4:5], v16, v9, s[4:5]
.LBB0_52:                               ;   Parent Loop BB0_15 Depth=1
                                        ;     Parent Loop BB0_31 Depth=2
                                        ;       Parent Loop BB0_47 Depth=3
                                        ;         Parent Loop BB0_50 Depth=4
                                        ; =>        This Inner Loop Header: Depth=5
	v_add_u32_e32 v16, s54, v6
	v_ashrrev_i32_e32 v18, 31, v16
	v_mul_lo_u32 v19, s23, v16
	v_mad_u64_u32 v[16:17], s[4:5], s22, v16, 0
	v_mul_lo_u32 v18, s22, v18
	s_add_i32 s54, s54, 1
	v_add3_u32 v17, v17, v18, v19
	v_lshlrev_b64 v[16:17], 3, v[16:17]
	v_add_co_u32_e64 v16, s[4:5], v8, v16
	v_addc_co_u32_e64 v17, s[4:5], v9, v17, s[4:5]
	global_load_dwordx2 v[16:17], v[16:17], off
	v_cmp_ge_i32_e64 s[4:5], s54, v7
	s_or_b64 s[34:35], s[4:5], s[34:35]
	s_waitcnt vmcnt(0)
	v_add_f64 v[4:5], v[4:5], v[16:17]
	s_andn2_b64 exec, exec, s[34:35]
	s_cbranch_execnz .LBB0_52
; %bb.53:                               ;   in Loop: Header=BB0_50 Depth=4
	s_or_b64 exec, exec, s[34:35]
	s_branch .LBB0_49
.LBB0_54:
	s_endpgm
.LBB0_55:
                                        ; implicit-def: $sgpr0_sgpr1
	s_branch .LBB0_2
.LBB0_56:
                                        ; implicit-def: $sgpr28_sgpr29
	s_branch .LBB0_5
.LBB0_57:
                                        ; implicit-def: $sgpr30_sgpr31
	s_load_dword s31, s[4:5], 0x6c
	s_andn2_b64 vcc, exec, s[10:11]
	s_cbranch_vccz .LBB0_8
	s_branch .LBB0_9
.LBB0_58:
                                        ; implicit-def: $sgpr34_sgpr35
	s_load_dword s49, s[4:5], 0x64
	s_branch .LBB0_12
	.section	.rodata,"a",@progbits
	.p2align	6, 0x0
	.amdhsa_kernel _ZN2at6native12_GLOBAL__N_119adaptiveaveragepoolIddEEvPKT_PS3_iiiiiilllllll
		.amdhsa_group_segment_fixed_size 0
		.amdhsa_private_segment_fixed_size 0
		.amdhsa_kernarg_size 352
		.amdhsa_user_sgpr_count 6
		.amdhsa_user_sgpr_private_segment_buffer 1
		.amdhsa_user_sgpr_dispatch_ptr 0
		.amdhsa_user_sgpr_queue_ptr 0
		.amdhsa_user_sgpr_kernarg_segment_ptr 1
		.amdhsa_user_sgpr_dispatch_id 0
		.amdhsa_user_sgpr_flat_scratch_init 0
		.amdhsa_user_sgpr_private_segment_size 0
		.amdhsa_uses_dynamic_stack 0
		.amdhsa_system_sgpr_private_segment_wavefront_offset 0
		.amdhsa_system_sgpr_workgroup_id_x 1
		.amdhsa_system_sgpr_workgroup_id_y 1
		.amdhsa_system_sgpr_workgroup_id_z 0
		.amdhsa_system_sgpr_workgroup_info 0
		.amdhsa_system_vgpr_workitem_id 1
		.amdhsa_next_free_vgpr 22
		.amdhsa_next_free_sgpr 55
		.amdhsa_reserve_vcc 1
		.amdhsa_reserve_flat_scratch 0
		.amdhsa_float_round_mode_32 0
		.amdhsa_float_round_mode_16_64 0
		.amdhsa_float_denorm_mode_32 3
		.amdhsa_float_denorm_mode_16_64 3
		.amdhsa_dx10_clamp 1
		.amdhsa_ieee_mode 1
		.amdhsa_fp16_overflow 0
		.amdhsa_exception_fp_ieee_invalid_op 0
		.amdhsa_exception_fp_denorm_src 0
		.amdhsa_exception_fp_ieee_div_zero 0
		.amdhsa_exception_fp_ieee_overflow 0
		.amdhsa_exception_fp_ieee_underflow 0
		.amdhsa_exception_fp_ieee_inexact 0
		.amdhsa_exception_int_div_zero 0
	.end_amdhsa_kernel
	.section	.text._ZN2at6native12_GLOBAL__N_119adaptiveaveragepoolIddEEvPKT_PS3_iiiiiilllllll,"axG",@progbits,_ZN2at6native12_GLOBAL__N_119adaptiveaveragepoolIddEEvPKT_PS3_iiiiiilllllll,comdat
.Lfunc_end0:
	.size	_ZN2at6native12_GLOBAL__N_119adaptiveaveragepoolIddEEvPKT_PS3_iiiiiilllllll, .Lfunc_end0-_ZN2at6native12_GLOBAL__N_119adaptiveaveragepoolIddEEvPKT_PS3_iiiiiilllllll
                                        ; -- End function
	.set _ZN2at6native12_GLOBAL__N_119adaptiveaveragepoolIddEEvPKT_PS3_iiiiiilllllll.num_vgpr, 22
	.set _ZN2at6native12_GLOBAL__N_119adaptiveaveragepoolIddEEvPKT_PS3_iiiiiilllllll.num_agpr, 0
	.set _ZN2at6native12_GLOBAL__N_119adaptiveaveragepoolIddEEvPKT_PS3_iiiiiilllllll.numbered_sgpr, 55
	.set _ZN2at6native12_GLOBAL__N_119adaptiveaveragepoolIddEEvPKT_PS3_iiiiiilllllll.num_named_barrier, 0
	.set _ZN2at6native12_GLOBAL__N_119adaptiveaveragepoolIddEEvPKT_PS3_iiiiiilllllll.private_seg_size, 0
	.set _ZN2at6native12_GLOBAL__N_119adaptiveaveragepoolIddEEvPKT_PS3_iiiiiilllllll.uses_vcc, 1
	.set _ZN2at6native12_GLOBAL__N_119adaptiveaveragepoolIddEEvPKT_PS3_iiiiiilllllll.uses_flat_scratch, 0
	.set _ZN2at6native12_GLOBAL__N_119adaptiveaveragepoolIddEEvPKT_PS3_iiiiiilllllll.has_dyn_sized_stack, 0
	.set _ZN2at6native12_GLOBAL__N_119adaptiveaveragepoolIddEEvPKT_PS3_iiiiiilllllll.has_recursion, 0
	.set _ZN2at6native12_GLOBAL__N_119adaptiveaveragepoolIddEEvPKT_PS3_iiiiiilllllll.has_indirect_call, 0
	.section	.AMDGPU.csdata,"",@progbits
; Kernel info:
; codeLenInByte = 7740
; TotalNumSgprs: 59
; NumVgprs: 22
; ScratchSize: 0
; MemoryBound: 0
; FloatMode: 240
; IeeeMode: 1
; LDSByteSize: 0 bytes/workgroup (compile time only)
; SGPRBlocks: 7
; VGPRBlocks: 5
; NumSGPRsForWavesPerEU: 59
; NumVGPRsForWavesPerEU: 22
; Occupancy: 10
; WaveLimiterHint : 0
; COMPUTE_PGM_RSRC2:SCRATCH_EN: 0
; COMPUTE_PGM_RSRC2:USER_SGPR: 6
; COMPUTE_PGM_RSRC2:TRAP_HANDLER: 0
; COMPUTE_PGM_RSRC2:TGID_X_EN: 1
; COMPUTE_PGM_RSRC2:TGID_Y_EN: 1
; COMPUTE_PGM_RSRC2:TGID_Z_EN: 0
; COMPUTE_PGM_RSRC2:TIDIG_COMP_CNT: 1
	.section	.text._ZN2at6native12_GLOBAL__N_119adaptiveaveragepoolIffEEvPKT_PS3_iiiiiilllllll,"axG",@progbits,_ZN2at6native12_GLOBAL__N_119adaptiveaveragepoolIffEEvPKT_PS3_iiiiiilllllll,comdat
	.globl	_ZN2at6native12_GLOBAL__N_119adaptiveaveragepoolIffEEvPKT_PS3_iiiiiilllllll ; -- Begin function _ZN2at6native12_GLOBAL__N_119adaptiveaveragepoolIffEEvPKT_PS3_iiiiiilllllll
	.p2align	8
	.type	_ZN2at6native12_GLOBAL__N_119adaptiveaveragepoolIffEEvPKT_PS3_iiiiiilllllll,@function
_ZN2at6native12_GLOBAL__N_119adaptiveaveragepoolIffEEvPKT_PS3_iiiiiilllllll: ; @_ZN2at6native12_GLOBAL__N_119adaptiveaveragepoolIffEEvPKT_PS3_iiiiiilllllll
; %bb.0:
	s_load_dwordx2 s[0:1], s[4:5], 0x58
	s_load_dwordx4 s[16:19], s[4:5], 0x10
	s_load_dwordx2 s[24:25], s[4:5], 0x20
	s_mov_b32 s8, 0
	s_waitcnt lgkmcnt(0)
	s_add_u32 s26, s0, s6
	s_addc_u32 s27, s1, 0
	s_ashr_i32 s3, s19, 31
	s_mov_b32 s2, s19
	s_or_b64 s[0:1], s[26:27], s[2:3]
	s_mov_b32 s9, s1
	s_cmp_lg_u64 s[8:9], 0
	s_cbranch_scc0 .LBB1_55
; %bb.1:
	s_ashr_i32 s0, s3, 31
	s_add_u32 s8, s2, s0
	s_mov_b32 s1, s0
	s_addc_u32 s9, s3, s0
	s_xor_b64 s[10:11], s[8:9], s[0:1]
	v_cvt_f32_u32_e32 v2, s10
	v_cvt_f32_u32_e32 v3, s11
	s_sub_u32 s6, 0, s10
	s_subb_u32 s14, 0, s11
	v_madmk_f32 v2, v3, 0x4f800000, v2
	v_rcp_f32_e32 v2, v2
	v_mul_f32_e32 v2, 0x5f7ffffc, v2
	v_mul_f32_e32 v3, 0x2f800000, v2
	v_trunc_f32_e32 v3, v3
	v_madmk_f32 v2, v3, 0xcf800000, v2
	v_cvt_u32_f32_e32 v3, v3
	v_cvt_u32_f32_e32 v2, v2
	v_readfirstlane_b32 s15, v3
	v_readfirstlane_b32 s12, v2
	s_mul_i32 s13, s6, s15
	s_mul_hi_u32 s20, s6, s12
	s_mul_i32 s19, s14, s12
	s_add_i32 s13, s20, s13
	s_add_i32 s13, s13, s19
	s_mul_i32 s21, s6, s12
	s_mul_i32 s20, s12, s13
	s_mul_hi_u32 s22, s12, s21
	s_mul_hi_u32 s19, s12, s13
	s_add_u32 s20, s22, s20
	s_addc_u32 s19, 0, s19
	s_mul_hi_u32 s23, s15, s21
	s_mul_i32 s21, s15, s21
	s_add_u32 s20, s20, s21
	s_mul_hi_u32 s22, s15, s13
	s_addc_u32 s19, s19, s23
	s_addc_u32 s20, s22, 0
	s_mul_i32 s13, s15, s13
	s_add_u32 s13, s19, s13
	s_addc_u32 s19, 0, s20
	s_add_u32 s20, s12, s13
	s_cselect_b64 s[12:13], -1, 0
	s_cmp_lg_u64 s[12:13], 0
	s_addc_u32 s15, s15, s19
	s_mul_i32 s12, s6, s15
	s_mul_hi_u32 s13, s6, s20
	s_add_i32 s12, s13, s12
	s_mul_i32 s14, s14, s20
	s_add_i32 s12, s12, s14
	s_mul_i32 s6, s6, s20
	s_mul_hi_u32 s14, s15, s6
	s_mul_i32 s19, s15, s6
	s_mul_i32 s22, s20, s12
	s_mul_hi_u32 s6, s20, s6
	s_mul_hi_u32 s21, s20, s12
	s_add_u32 s6, s6, s22
	s_addc_u32 s21, 0, s21
	s_add_u32 s6, s6, s19
	s_mul_hi_u32 s13, s15, s12
	s_addc_u32 s6, s21, s14
	s_addc_u32 s13, s13, 0
	s_mul_i32 s12, s15, s12
	s_add_u32 s6, s6, s12
	s_addc_u32 s14, 0, s13
	s_add_u32 s6, s20, s6
	s_cselect_b64 s[12:13], -1, 0
	s_cmp_lg_u64 s[12:13], 0
	s_addc_u32 s19, s15, s14
	s_ashr_i32 s12, s27, 31
	s_add_u32 s14, s26, s12
	s_mov_b32 s13, s12
	s_addc_u32 s15, s27, s12
	s_xor_b64 s[14:15], s[14:15], s[12:13]
	s_mul_i32 s21, s14, s19
	s_mul_hi_u32 s22, s14, s6
	s_mul_hi_u32 s20, s14, s19
	s_add_u32 s21, s22, s21
	s_addc_u32 s20, 0, s20
	s_mul_hi_u32 s23, s15, s6
	s_mul_i32 s6, s15, s6
	s_add_u32 s6, s21, s6
	s_mul_hi_u32 s22, s15, s19
	s_addc_u32 s6, s20, s23
	s_addc_u32 s20, s22, 0
	s_mul_i32 s19, s15, s19
	s_add_u32 s6, s6, s19
	s_addc_u32 s19, 0, s20
	s_mul_i32 s20, s10, s19
	s_mul_hi_u32 s21, s10, s6
	s_add_i32 s20, s21, s20
	s_mul_i32 s21, s11, s6
	s_add_i32 s28, s20, s21
	s_sub_i32 s22, s15, s28
	s_mul_i32 s20, s10, s6
	s_sub_u32 s14, s14, s20
	s_cselect_b64 s[20:21], -1, 0
	s_cmp_lg_u64 s[20:21], 0
	s_subb_u32 s29, s22, s11
	s_sub_u32 s30, s14, s10
	s_cselect_b64 s[22:23], -1, 0
	s_cmp_lg_u64 s[22:23], 0
	s_subb_u32 s22, s29, 0
	s_cmp_ge_u32 s22, s11
	s_cselect_b32 s23, -1, 0
	s_cmp_ge_u32 s30, s10
	s_cselect_b32 s29, -1, 0
	s_cmp_eq_u32 s22, s11
	s_cselect_b32 s22, s29, s23
	s_add_u32 s23, s6, 1
	s_addc_u32 s29, s19, 0
	s_add_u32 s30, s6, 2
	s_addc_u32 s31, s19, 0
	s_cmp_lg_u32 s22, 0
	s_cselect_b32 s22, s30, s23
	s_cselect_b32 s23, s31, s29
	s_cmp_lg_u64 s[20:21], 0
	s_subb_u32 s15, s15, s28
	s_cmp_ge_u32 s15, s11
	s_cselect_b32 s20, -1, 0
	s_cmp_ge_u32 s14, s10
	s_cselect_b32 s10, -1, 0
	s_cmp_eq_u32 s15, s11
	s_cselect_b32 s10, s10, s20
	s_cmp_lg_u32 s10, 0
	s_cselect_b32 s11, s23, s19
	s_cselect_b32 s10, s22, s6
	s_xor_b64 s[0:1], s[12:13], s[0:1]
	s_xor_b64 s[10:11], s[10:11], s[0:1]
	s_sub_u32 s0, s10, s0
	s_subb_u32 s1, s11, s1
	s_cbranch_execnz .LBB1_3
.LBB1_2:
	v_cvt_f32_u32_e32 v2, s2
	s_sub_i32 s0, 0, s2
	s_mov_b32 s1, 0
	v_rcp_iflag_f32_e32 v2, v2
	v_mul_f32_e32 v2, 0x4f7ffffe, v2
	v_cvt_u32_f32_e32 v2, v2
	v_readfirstlane_b32 s6, v2
	s_mul_i32 s0, s0, s6
	s_mul_hi_u32 s0, s6, s0
	s_add_i32 s6, s6, s0
	s_mul_hi_u32 s0, s26, s6
	s_mul_i32 s8, s0, s2
	s_sub_i32 s8, s26, s8
	s_add_i32 s6, s0, 1
	s_sub_i32 s9, s8, s2
	s_cmp_ge_u32 s8, s2
	s_cselect_b32 s0, s6, s0
	s_cselect_b32 s8, s9, s8
	s_add_i32 s6, s0, 1
	s_cmp_ge_u32 s8, s2
	s_cselect_b32 s0, s6, s0
.LBB1_3:
	s_mul_i32 s6, s0, s3
	s_mul_hi_u32 s8, s0, s2
	s_add_i32 s6, s8, s6
	s_mul_i32 s8, s1, s2
	s_add_i32 s8, s6, s8
	s_mul_i32 s6, s0, s2
	s_sub_u32 s6, s26, s6
	s_subb_u32 s20, s27, s8
	s_abs_i32 s8, s2
	v_cvt_f32_u32_e32 v2, s8
	s_sub_i32 s12, 0, s8
	s_abs_i32 s11, s6
	s_xor_b32 s9, s6, s2
	v_rcp_iflag_f32_e32 v2, v2
	s_ashr_i32 s21, s16, 31
	s_ashr_i32 s9, s9, 31
	s_mov_b32 s10, 0
	v_mul_f32_e32 v2, 0x4f7ffffe, v2
	v_cvt_u32_f32_e32 v2, v2
	v_readfirstlane_b32 s13, v2
	s_mul_i32 s12, s12, s13
	s_mul_hi_u32 s12, s13, s12
	s_add_i32 s13, s13, s12
	s_mul_hi_u32 s12, s11, s13
	s_mul_i32 s13, s12, s8
	s_sub_i32 s11, s11, s13
	s_add_i32 s13, s12, 1
	s_sub_i32 s14, s11, s8
	s_cmp_ge_u32 s11, s8
	s_cselect_b32 s12, s13, s12
	s_cselect_b32 s11, s14, s11
	s_add_i32 s13, s12, 1
	s_cmp_ge_u32 s11, s8
	s_cselect_b32 s8, s13, s12
	s_xor_b32 s8, s8, s9
	s_sub_i32 s19, s8, s9
	s_mul_i32 s8, s19, s2
	s_sub_i32 s8, s6, s8
	s_mul_hi_i32 s9, s8, s16
	s_mul_i32 s8, s8, s16
	s_or_b64 s[12:13], s[8:9], s[2:3]
	s_mov_b32 s11, s13
	s_cmp_lg_u64 s[10:11], 0
	s_cbranch_scc0 .LBB1_56
; %bb.4:
	s_ashr_i32 s10, s3, 31
	s_add_u32 s12, s2, s10
	s_mov_b32 s11, s10
	s_addc_u32 s13, s3, s10
	s_xor_b64 s[14:15], s[12:13], s[10:11]
	v_cvt_f32_u32_e32 v2, s14
	v_cvt_f32_u32_e32 v3, s15
	s_sub_u32 s28, 0, s14
	s_subb_u32 s29, 0, s15
	v_madmk_f32 v2, v3, 0x4f800000, v2
	v_rcp_f32_e32 v2, v2
	v_mul_f32_e32 v2, 0x5f7ffffc, v2
	v_mul_f32_e32 v3, 0x2f800000, v2
	v_trunc_f32_e32 v3, v3
	v_madmk_f32 v2, v3, 0xcf800000, v2
	v_cvt_u32_f32_e32 v3, v3
	v_cvt_u32_f32_e32 v2, v2
	v_readfirstlane_b32 s30, v3
	v_readfirstlane_b32 s22, v2
	s_mul_i32 s23, s28, s30
	s_mul_hi_u32 s33, s28, s22
	s_mul_i32 s31, s29, s22
	s_add_i32 s23, s33, s23
	s_add_i32 s23, s23, s31
	s_mul_i32 s34, s28, s22
	s_mul_i32 s33, s22, s23
	s_mul_hi_u32 s35, s22, s34
	s_mul_hi_u32 s31, s22, s23
	s_add_u32 s33, s35, s33
	s_addc_u32 s31, 0, s31
	s_mul_hi_u32 s36, s30, s34
	s_mul_i32 s34, s30, s34
	s_add_u32 s33, s33, s34
	s_mul_hi_u32 s35, s30, s23
	s_addc_u32 s31, s31, s36
	s_addc_u32 s33, s35, 0
	s_mul_i32 s23, s30, s23
	s_add_u32 s23, s31, s23
	s_addc_u32 s31, 0, s33
	s_add_u32 s33, s22, s23
	s_cselect_b64 s[22:23], -1, 0
	s_cmp_lg_u64 s[22:23], 0
	s_addc_u32 s30, s30, s31
	s_mul_i32 s22, s28, s30
	s_mul_hi_u32 s23, s28, s33
	s_add_i32 s22, s23, s22
	s_mul_i32 s29, s29, s33
	s_add_i32 s22, s22, s29
	s_mul_i32 s28, s28, s33
	s_mul_hi_u32 s29, s30, s28
	s_mul_i32 s31, s30, s28
	s_mul_i32 s35, s33, s22
	s_mul_hi_u32 s28, s33, s28
	s_mul_hi_u32 s34, s33, s22
	s_add_u32 s28, s28, s35
	s_addc_u32 s34, 0, s34
	s_add_u32 s28, s28, s31
	s_mul_hi_u32 s23, s30, s22
	s_addc_u32 s28, s34, s29
	s_addc_u32 s23, s23, 0
	s_mul_i32 s22, s30, s22
	s_add_u32 s22, s28, s22
	s_addc_u32 s28, 0, s23
	s_add_u32 s31, s33, s22
	s_cselect_b64 s[22:23], -1, 0
	s_cmp_lg_u64 s[22:23], 0
	s_addc_u32 s30, s30, s28
	s_ashr_i32 s22, s9, 31
	s_add_u32 s28, s8, s22
	s_mov_b32 s23, s22
	s_addc_u32 s29, s9, s22
	s_xor_b64 s[28:29], s[28:29], s[22:23]
	s_mul_i32 s33, s28, s30
	s_mul_hi_u32 s34, s28, s31
	s_mul_hi_u32 s9, s28, s30
	s_add_u32 s33, s34, s33
	s_addc_u32 s9, 0, s9
	s_mul_hi_u32 s35, s29, s31
	s_mul_i32 s31, s29, s31
	s_add_u32 s31, s33, s31
	s_mul_hi_u32 s34, s29, s30
	s_addc_u32 s9, s9, s35
	s_addc_u32 s31, s34, 0
	s_mul_i32 s30, s29, s30
	s_add_u32 s9, s9, s30
	s_addc_u32 s33, 0, s31
	s_mul_i32 s30, s14, s33
	s_mul_hi_u32 s31, s14, s9
	s_add_i32 s30, s31, s30
	s_mul_i32 s31, s15, s9
	s_add_i32 s36, s30, s31
	s_sub_i32 s34, s29, s36
	s_mul_i32 s30, s14, s9
	s_sub_u32 s28, s28, s30
	s_cselect_b64 s[30:31], -1, 0
	s_cmp_lg_u64 s[30:31], 0
	s_subb_u32 s37, s34, s15
	s_sub_u32 s38, s28, s14
	s_cselect_b64 s[34:35], -1, 0
	s_cmp_lg_u64 s[34:35], 0
	s_subb_u32 s34, s37, 0
	s_cmp_ge_u32 s34, s15
	s_cselect_b32 s35, -1, 0
	s_cmp_ge_u32 s38, s14
	s_cselect_b32 s37, -1, 0
	s_cmp_eq_u32 s34, s15
	s_cselect_b32 s34, s37, s35
	s_add_u32 s35, s9, 1
	s_addc_u32 s37, s33, 0
	s_add_u32 s38, s9, 2
	s_addc_u32 s39, s33, 0
	s_cmp_lg_u32 s34, 0
	s_cselect_b32 s34, s38, s35
	s_cselect_b32 s35, s39, s37
	s_cmp_lg_u64 s[30:31], 0
	s_subb_u32 s29, s29, s36
	s_cmp_ge_u32 s29, s15
	s_cselect_b32 s30, -1, 0
	s_cmp_ge_u32 s28, s14
	s_cselect_b32 s14, -1, 0
	s_cmp_eq_u32 s29, s15
	s_cselect_b32 s14, s14, s30
	s_cmp_lg_u32 s14, 0
	s_cselect_b32 s15, s35, s33
	s_cselect_b32 s14, s34, s9
	s_xor_b64 s[10:11], s[22:23], s[10:11]
	s_xor_b64 s[14:15], s[14:15], s[10:11]
	s_sub_u32 s28, s14, s10
	s_cbranch_execnz .LBB1_6
.LBB1_5:
	v_cvt_f32_u32_e32 v2, s2
	s_sub_i32 s9, 0, s2
	v_rcp_iflag_f32_e32 v2, v2
	v_mul_f32_e32 v2, 0x4f7ffffe, v2
	v_cvt_u32_f32_e32 v2, v2
	v_readfirstlane_b32 s10, v2
	s_mul_i32 s9, s9, s10
	s_mul_hi_u32 s9, s10, s9
	s_add_i32 s10, s10, s9
	s_mul_hi_u32 s9, s8, s10
	s_mul_i32 s11, s9, s2
	s_sub_i32 s8, s8, s11
	s_add_i32 s10, s9, 1
	s_sub_i32 s11, s8, s2
	s_cmp_ge_u32 s8, s2
	s_cselect_b32 s9, s10, s9
	s_cselect_b32 s8, s11, s8
	s_add_i32 s10, s9, 1
	s_cmp_ge_u32 s8, s2
	s_cselect_b32 s28, s10, s9
.LBB1_6:
	s_add_u32 s6, s6, 1
	s_addc_u32 s8, s20, 0
	s_mul_i32 s9, s6, s21
	s_mul_hi_u32 s10, s6, s16
	s_add_i32 s9, s10, s9
	s_mul_i32 s8, s8, s16
	s_add_i32 s9, s9, s8
	s_mul_i32 s6, s6, s16
	s_add_u32 s8, s6, -1
	s_addc_u32 s9, s9, -1
	s_or_b64 s[10:11], s[8:9], s[2:3]
	s_mov_b32 s10, 0
	s_cmp_lg_u64 s[10:11], 0
	s_mov_b64 s[10:11], -1
	s_cbranch_scc0 .LBB1_57
; %bb.7:
	s_ashr_i32 s12, s3, 31
	s_add_u32 s10, s2, s12
	s_mov_b32 s13, s12
	s_addc_u32 s11, s3, s12
	s_xor_b64 s[14:15], s[10:11], s[12:13]
	v_cvt_f32_u32_e32 v2, s14
	v_cvt_f32_u32_e32 v3, s15
	s_sub_u32 s3, 0, s14
	s_subb_u32 s6, 0, s15
	v_madmk_f32 v2, v3, 0x4f800000, v2
	v_rcp_f32_e32 v2, v2
	v_mul_f32_e32 v2, 0x5f7ffffc, v2
	v_mul_f32_e32 v3, 0x2f800000, v2
	v_trunc_f32_e32 v3, v3
	v_madmk_f32 v2, v3, 0xcf800000, v2
	v_cvt_u32_f32_e32 v3, v3
	v_cvt_u32_f32_e32 v2, v2
	v_readfirstlane_b32 s22, v3
	v_readfirstlane_b32 s20, v2
	s_mul_i32 s21, s3, s22
	s_mul_hi_u32 s29, s3, s20
	s_mul_i32 s23, s6, s20
	s_add_i32 s21, s29, s21
	s_add_i32 s21, s21, s23
	s_mul_i32 s30, s3, s20
	s_mul_i32 s29, s20, s21
	s_mul_hi_u32 s31, s20, s30
	s_mul_hi_u32 s23, s20, s21
	s_add_u32 s29, s31, s29
	s_addc_u32 s23, 0, s23
	s_mul_hi_u32 s33, s22, s30
	s_mul_i32 s30, s22, s30
	s_add_u32 s29, s29, s30
	s_mul_hi_u32 s31, s22, s21
	s_addc_u32 s23, s23, s33
	s_addc_u32 s29, s31, 0
	s_mul_i32 s21, s22, s21
	s_add_u32 s21, s23, s21
	s_addc_u32 s23, 0, s29
	s_add_u32 s29, s20, s21
	s_cselect_b64 s[20:21], -1, 0
	s_cmp_lg_u64 s[20:21], 0
	s_addc_u32 s22, s22, s23
	s_mul_i32 s20, s3, s22
	s_mul_hi_u32 s21, s3, s29
	s_add_i32 s20, s21, s20
	s_mul_i32 s6, s6, s29
	s_add_i32 s20, s20, s6
	s_mul_i32 s3, s3, s29
	s_mul_hi_u32 s21, s22, s3
	s_mul_i32 s23, s22, s3
	s_mul_i32 s31, s29, s20
	s_mul_hi_u32 s3, s29, s3
	s_mul_hi_u32 s30, s29, s20
	s_add_u32 s3, s3, s31
	s_addc_u32 s30, 0, s30
	s_add_u32 s3, s3, s23
	s_mul_hi_u32 s6, s22, s20
	s_addc_u32 s3, s30, s21
	s_addc_u32 s6, s6, 0
	s_mul_i32 s20, s22, s20
	s_add_u32 s3, s3, s20
	s_addc_u32 s6, 0, s6
	s_add_u32 s3, s29, s3
	s_cselect_b64 s[20:21], -1, 0
	s_cmp_lg_u64 s[20:21], 0
	s_addc_u32 s6, s22, s6
	s_ashr_i32 s20, s9, 31
	s_add_u32 s22, s8, s20
	s_mov_b32 s21, s20
	s_addc_u32 s23, s9, s20
	s_xor_b64 s[22:23], s[22:23], s[20:21]
	s_mul_i32 s29, s22, s6
	s_mul_hi_u32 s30, s22, s3
	s_mul_hi_u32 s9, s22, s6
	s_add_u32 s29, s30, s29
	s_addc_u32 s9, 0, s9
	s_mul_hi_u32 s31, s23, s3
	s_mul_i32 s3, s23, s3
	s_add_u32 s3, s29, s3
	s_mul_hi_u32 s30, s23, s6
	s_addc_u32 s3, s9, s31
	s_addc_u32 s9, s30, 0
	s_mul_i32 s6, s23, s6
	s_add_u32 s3, s3, s6
	s_addc_u32 s6, 0, s9
	s_mul_i32 s9, s14, s6
	s_mul_hi_u32 s29, s14, s3
	s_add_i32 s9, s29, s9
	s_mul_i32 s29, s15, s3
	s_add_i32 s9, s9, s29
	s_sub_i32 s29, s23, s9
	s_mul_i32 s30, s14, s3
	s_sub_u32 s22, s22, s30
	s_cselect_b64 s[30:31], -1, 0
	s_cmp_lg_u64 s[30:31], 0
	s_subb_u32 s29, s29, s15
	s_sub_u32 s33, s22, s14
	s_cselect_b64 s[34:35], -1, 0
	s_cmp_lg_u64 s[34:35], 0
	s_subb_u32 s29, s29, 0
	s_cmp_ge_u32 s29, s15
	s_cselect_b32 s34, -1, 0
	s_cmp_ge_u32 s33, s14
	s_cselect_b32 s33, -1, 0
	s_cmp_eq_u32 s29, s15
	s_cselect_b32 s29, s33, s34
	s_add_u32 s33, s3, 1
	s_addc_u32 s34, s6, 0
	s_add_u32 s35, s3, 2
	s_addc_u32 s36, s6, 0
	s_cmp_lg_u32 s29, 0
	s_cselect_b32 s29, s35, s33
	s_cselect_b32 s33, s36, s34
	s_cmp_lg_u64 s[30:31], 0
	s_subb_u32 s9, s23, s9
	s_cmp_ge_u32 s9, s15
	s_cselect_b32 s23, -1, 0
	s_cmp_ge_u32 s22, s14
	s_cselect_b32 s14, -1, 0
	s_cmp_eq_u32 s9, s15
	s_cselect_b32 s9, s14, s23
	s_cmp_lg_u32 s9, 0
	s_cselect_b32 s15, s33, s6
	s_cselect_b32 s14, s29, s3
	s_xor_b64 s[12:13], s[20:21], s[12:13]
	s_xor_b64 s[14:15], s[14:15], s[12:13]
	s_sub_u32 s30, s14, s12
	s_load_dword s31, s[4:5], 0x6c
	s_cbranch_execnz .LBB1_9
.LBB1_8:
	v_cvt_f32_u32_e32 v2, s2
	s_sub_i32 s3, 0, s2
	v_rcp_iflag_f32_e32 v2, v2
	v_mul_f32_e32 v2, 0x4f7ffffe, v2
	v_cvt_u32_f32_e32 v2, v2
	v_readfirstlane_b32 s6, v2
	s_mul_i32 s3, s3, s6
	s_mul_hi_u32 s3, s6, s3
	s_add_i32 s6, s6, s3
	s_mul_hi_u32 s3, s8, s6
	s_mul_i32 s9, s3, s2
	s_sub_i32 s8, s8, s9
	s_add_i32 s6, s3, 1
	s_sub_i32 s9, s8, s2
	s_cmp_ge_u32 s8, s2
	s_cselect_b32 s3, s6, s3
	s_cselect_b32 s8, s9, s8
	s_add_i32 s6, s3, 1
	s_cmp_ge_u32 s8, s2
	s_cselect_b32 s30, s6, s3
.LBB1_9:
	s_waitcnt lgkmcnt(0)
	s_lshr_b32 s29, s31, 16
	s_mul_i32 s7, s7, s29
	v_add_u32_e32 v10, s7, v1
	v_cmp_gt_i32_e32 vcc, s24, v10
	s_and_saveexec_b64 s[2:3], vcc
	s_cbranch_execz .LBB1_54
; %bb.10:
	s_load_dwordx8 s[8:15], s[4:5], 0x28
	s_load_dwordx4 s[20:23], s[4:5], 0x48
	s_bfe_i64 s[6:7], s[0:1], 0x200000
	s_mov_b32 s2, 0
	s_waitcnt lgkmcnt(0)
	s_or_b64 s[34:35], s[6:7], s[8:9]
	s_mov_b32 s3, s35
	s_cmp_lg_u64 s[2:3], 0
	s_cbranch_scc0 .LBB1_58
; %bb.11:
	s_ashr_i32 s34, s9, 31
	s_add_u32 s2, s8, s34
	s_mov_b32 s35, s34
	s_addc_u32 s3, s9, s34
	s_xor_b64 s[36:37], s[2:3], s[34:35]
	v_cvt_f32_u32_e32 v1, s36
	v_cvt_f32_u32_e32 v2, s37
	s_sub_u32 s1, 0, s36
	s_subb_u32 s33, 0, s37
	v_madmk_f32 v1, v2, 0x4f800000, v1
	v_rcp_f32_e32 v1, v1
	v_mul_f32_e32 v1, 0x5f7ffffc, v1
	v_mul_f32_e32 v2, 0x2f800000, v1
	v_trunc_f32_e32 v2, v2
	v_madmk_f32 v1, v2, 0xcf800000, v1
	v_cvt_u32_f32_e32 v2, v2
	v_cvt_u32_f32_e32 v1, v1
	v_readfirstlane_b32 s40, v2
	v_readfirstlane_b32 s38, v1
	s_mul_i32 s39, s1, s40
	s_mul_hi_u32 s42, s1, s38
	s_mul_i32 s41, s33, s38
	s_add_i32 s39, s42, s39
	s_add_i32 s39, s39, s41
	s_mul_i32 s43, s1, s38
	s_mul_i32 s42, s38, s39
	s_mul_hi_u32 s44, s38, s43
	s_mul_hi_u32 s41, s38, s39
	s_add_u32 s42, s44, s42
	s_addc_u32 s41, 0, s41
	s_mul_hi_u32 s45, s40, s43
	s_mul_i32 s43, s40, s43
	s_add_u32 s42, s42, s43
	s_mul_hi_u32 s44, s40, s39
	s_addc_u32 s41, s41, s45
	s_addc_u32 s42, s44, 0
	s_mul_i32 s39, s40, s39
	s_add_u32 s39, s41, s39
	s_addc_u32 s41, 0, s42
	s_add_u32 s42, s38, s39
	s_cselect_b64 s[38:39], -1, 0
	s_cmp_lg_u64 s[38:39], 0
	s_addc_u32 s40, s40, s41
	s_mul_i32 s38, s1, s40
	s_mul_hi_u32 s39, s1, s42
	s_add_i32 s38, s39, s38
	s_mul_i32 s33, s33, s42
	s_add_i32 s38, s38, s33
	s_mul_i32 s1, s1, s42
	s_mul_hi_u32 s39, s40, s1
	s_mul_i32 s41, s40, s1
	s_mul_i32 s44, s42, s38
	s_mul_hi_u32 s1, s42, s1
	s_mul_hi_u32 s43, s42, s38
	s_add_u32 s1, s1, s44
	s_addc_u32 s43, 0, s43
	s_add_u32 s1, s1, s41
	s_mul_hi_u32 s33, s40, s38
	s_addc_u32 s1, s43, s39
	s_addc_u32 s33, s33, 0
	s_mul_i32 s38, s40, s38
	s_add_u32 s1, s1, s38
	s_addc_u32 s33, 0, s33
	s_add_u32 s1, s42, s1
	s_cselect_b64 s[38:39], -1, 0
	s_cmp_lg_u64 s[38:39], 0
	s_addc_u32 s33, s40, s33
	s_ashr_i32 s38, s7, 31
	s_add_u32 s40, s6, s38
	s_mov_b32 s39, s38
	s_addc_u32 s41, s7, s38
	s_xor_b64 s[40:41], s[40:41], s[38:39]
	s_mul_i32 s43, s40, s33
	s_mul_hi_u32 s44, s40, s1
	s_mul_hi_u32 s42, s40, s33
	s_add_u32 s43, s44, s43
	s_addc_u32 s42, 0, s42
	s_mul_hi_u32 s45, s41, s1
	s_mul_i32 s1, s41, s1
	s_add_u32 s1, s43, s1
	s_mul_hi_u32 s44, s41, s33
	s_addc_u32 s1, s42, s45
	s_addc_u32 s42, s44, 0
	s_mul_i32 s33, s41, s33
	s_add_u32 s1, s1, s33
	s_addc_u32 s33, 0, s42
	s_mul_i32 s42, s36, s33
	s_mul_hi_u32 s43, s36, s1
	s_add_i32 s42, s43, s42
	s_mul_i32 s43, s37, s1
	s_add_i32 s46, s42, s43
	s_sub_i32 s44, s41, s46
	s_mul_i32 s42, s36, s1
	s_sub_u32 s40, s40, s42
	s_cselect_b64 s[42:43], -1, 0
	s_cmp_lg_u64 s[42:43], 0
	s_subb_u32 s47, s44, s37
	s_sub_u32 s48, s40, s36
	s_cselect_b64 s[44:45], -1, 0
	s_cmp_lg_u64 s[44:45], 0
	s_subb_u32 s44, s47, 0
	s_cmp_ge_u32 s44, s37
	s_cselect_b32 s45, -1, 0
	s_cmp_ge_u32 s48, s36
	s_cselect_b32 s47, -1, 0
	s_cmp_eq_u32 s44, s37
	s_cselect_b32 s44, s47, s45
	s_add_u32 s45, s1, 1
	s_addc_u32 s47, s33, 0
	s_add_u32 s48, s1, 2
	s_addc_u32 s49, s33, 0
	s_cmp_lg_u32 s44, 0
	s_cselect_b32 s44, s48, s45
	s_cselect_b32 s45, s49, s47
	s_cmp_lg_u64 s[42:43], 0
	s_subb_u32 s41, s41, s46
	s_cmp_ge_u32 s41, s37
	s_cselect_b32 s42, -1, 0
	s_cmp_ge_u32 s40, s36
	s_cselect_b32 s36, -1, 0
	s_cmp_eq_u32 s41, s37
	s_cselect_b32 s36, s36, s42
	s_cmp_lg_u32 s36, 0
	s_cselect_b32 s37, s45, s33
	s_cselect_b32 s36, s44, s1
	s_xor_b64 s[34:35], s[38:39], s[34:35]
	s_xor_b64 s[36:37], s[36:37], s[34:35]
	s_sub_u32 s34, s36, s34
	s_subb_u32 s35, s37, s35
	s_load_dword s49, s[4:5], 0x64
	s_cbranch_execnz .LBB1_13
.LBB1_12:
	v_cvt_f32_u32_e32 v1, s8
	s_sub_i32 s1, 0, s8
	s_mov_b32 s35, 0
	v_rcp_iflag_f32_e32 v1, v1
	v_mul_f32_e32 v1, 0x4f7ffffe, v1
	v_cvt_u32_f32_e32 v1, v1
	v_readfirstlane_b32 s2, v1
	s_mul_i32 s1, s1, s2
	s_mul_hi_u32 s1, s2, s1
	s_add_i32 s2, s2, s1
	s_mul_hi_u32 s1, s0, s2
	s_mul_i32 s3, s1, s8
	s_sub_i32 s0, s0, s3
	s_add_i32 s2, s1, 1
	s_sub_i32 s3, s0, s8
	s_cmp_ge_u32 s0, s8
	s_cselect_b32 s1, s2, s1
	s_cselect_b32 s0, s3, s0
	s_add_i32 s2, s1, 1
	s_cmp_ge_u32 s0, s8
	s_cselect_b32 s34, s2, s1
.LBB1_13:
	s_mul_i32 s19, s19, s16
	s_load_dwordx4 s[0:3], s[4:5], 0x0
	s_mul_i32 s16, s25, s24
	s_mul_hi_i32 s4, s25, s24
	s_mul_i32 s5, s16, s27
	s_mul_hi_u32 s27, s16, s26
	s_add_i32 s19, s28, s19
	s_add_i32 s5, s27, s5
	s_mul_i32 s4, s4, s26
	s_sub_i32 s33, s30, s19
	s_add_i32 s5, s5, s4
	s_mul_i32 s4, s16, s26
	s_add_i32 s33, s33, 1
	s_ashr_i32 s36, s24, 31
	s_ashr_i32 s38, s25, 31
	s_lshl_b64 s[4:5], s[4:5], 2
	s_waitcnt lgkmcnt(0)
	s_add_u32 s39, s2, s4
	s_addc_u32 s40, s3, s5
	s_mul_i32 s2, s34, s9
	s_mul_hi_u32 s3, s34, s8
	s_add_i32 s2, s3, s2
	s_mul_i32 s3, s35, s8
	s_and_b32 s41, s31, 0xffff
	s_add_i32 s2, s2, s3
	s_mul_i32 s3, s34, s8
	s_sub_u32 s4, s6, s3
	s_subb_u32 s5, s7, s2
	s_ashr_i32 s42, s17, 31
	s_ashr_i32 s43, s18, 31
	s_cmp_gt_i32 s33, 0
	s_cselect_b64 s[6:7], -1, 0
	s_bfe_i64 s[2:3], s[34:35], 0x200000
	s_mul_i32 s2, s34, s11
	s_mul_hi_u32 s8, s34, s10
	s_add_i32 s2, s8, s2
	s_mul_i32 s3, s3, s10
	s_mul_i32 s8, s4, s13
	s_mul_hi_u32 s9, s4, s12
	s_add_i32 s3, s2, s3
	s_mul_i32 s2, s34, s10
	s_add_i32 s8, s9, s8
	s_mul_i32 s5, s5, s12
	s_add_i32 s5, s8, s5
	s_lshl_b64 s[2:3], s[2:3], 2
	s_mul_i32 s4, s4, s12
	s_add_u32 s2, s0, s2
	s_addc_u32 s3, s1, s3
	s_lshl_b64 s[0:1], s[4:5], 2
	s_add_u32 s44, s2, s0
	s_addc_u32 s45, s3, s1
	s_ashr_i32 s46, s24, 31
	s_add_i32 s0, s24, s46
	s_xor_b32 s47, s0, s46
	s_mov_b32 s37, s24
	v_cvt_f32_u32_e32 v1, s47
	v_cvt_f32_u32_e32 v2, s37
	s_sub_i32 s0, 0, s47
	s_mov_b32 s48, s25
	v_rcp_iflag_f32_e32 v1, v1
	v_rcp_iflag_f32_e32 v2, v2
	s_mul_i32 s49, s49, s29
	s_mov_b32 s50, s17
	v_mul_f32_e32 v1, 0x4f7ffffe, v1
	v_cvt_u32_f32_e32 v1, v1
	v_mul_f32_e32 v2, 0x4f7ffffe, v2
	v_cvt_u32_f32_e32 v3, v2
	s_mov_b32 s8, 0
	v_mul_lo_u32 v2, s0, v1
	s_sub_i32 s0, 0, s24
	v_mul_lo_u32 v4, s0, v3
	v_cmp_gt_i32_e64 s[0:1], s25, v0
	v_mul_hi_u32 v5, v1, v2
	s_mov_b64 s[10:11], 0
	v_mul_hi_u32 v4, v3, v4
	v_mov_b32_e32 v2, 0
	v_add_u32_e32 v11, v1, v5
	v_add_u32_e32 v12, v3, v4
	s_branch .LBB1_15
.LBB1_14:                               ;   in Loop: Header=BB1_15 Depth=1
	s_or_b64 exec, exec, s[12:13]
	v_add_u32_e32 v10, s49, v10
	v_cmp_le_i32_e32 vcc, s24, v10
	s_or_b64 s[10:11], vcc, s[10:11]
	s_andn2_b64 exec, exec, s[10:11]
	s_cbranch_execz .LBB1_54
.LBB1_15:                               ; =>This Loop Header: Depth=1
                                        ;     Child Loop BB1_31 Depth 2
                                        ;       Child Loop BB1_47 Depth 3
                                        ;         Child Loop BB1_50 Depth 4
                                        ;           Child Loop BB1_52 Depth 5
	v_ashrrev_i32_e32 v8, 31, v10
	v_or_b32_e32 v4, s36, v8
	v_mov_b32_e32 v3, v2
	v_cmp_ne_u64_e32 vcc, 0, v[3:4]
                                        ; implicit-def: $vgpr3_vgpr4
	s_and_saveexec_b64 s[2:3], vcc
	s_xor_b64 s[2:3], exec, s[2:3]
	s_cbranch_execz .LBB1_17
; %bb.16:                               ;   in Loop: Header=BB1_15 Depth=1
	v_ashrrev_i32_e32 v1, 31, v10
	v_add_u32_e32 v3, v10, v1
	v_xor_b32_e32 v3, v3, v1
	v_mul_hi_u32 v4, v3, v11
	v_xor_b32_e32 v1, s46, v1
	v_mul_lo_u32 v5, v4, s47
	v_add_u32_e32 v6, 1, v4
	v_sub_u32_e32 v3, v3, v5
	v_subrev_u32_e32 v5, s47, v3
	v_cmp_le_u32_e32 vcc, s47, v3
	v_cndmask_b32_e32 v3, v3, v5, vcc
	v_cndmask_b32_e32 v4, v4, v6, vcc
	v_add_u32_e32 v5, 1, v4
	v_cmp_le_u32_e32 vcc, s47, v3
	v_cndmask_b32_e32 v3, v4, v5, vcc
	v_xor_b32_e32 v3, v3, v1
	v_sub_u32_e32 v3, v3, v1
	v_ashrrev_i32_e32 v4, 31, v3
.LBB1_17:                               ;   in Loop: Header=BB1_15 Depth=1
	s_andn2_saveexec_b64 s[2:3], s[2:3]
	s_cbranch_execz .LBB1_19
; %bb.18:                               ;   in Loop: Header=BB1_15 Depth=1
	v_mul_hi_u32 v1, v10, v12
	v_mul_lo_u32 v3, v1, s37
	v_add_u32_e32 v4, 1, v1
	v_sub_u32_e32 v3, v10, v3
	v_subrev_u32_e32 v5, s37, v3
	v_cmp_le_u32_e32 vcc, s37, v3
	v_cndmask_b32_e32 v3, v3, v5, vcc
	v_cndmask_b32_e32 v1, v1, v4, vcc
	v_add_u32_e32 v4, 1, v1
	v_cmp_le_u32_e32 vcc, s37, v3
	v_cndmask_b32_e32 v1, v1, v4, vcc
	v_mov_b32_e32 v4, v2
	v_mov_b32_e32 v3, v1
.LBB1_19:                               ;   in Loop: Header=BB1_15 Depth=1
	s_or_b64 exec, exec, s[2:3]
	v_mul_lo_u32 v1, v4, s37
	v_mul_lo_u32 v6, v3, s36
	v_mad_u64_u32 v[4:5], s[2:3], v3, s37, 0
	v_add3_u32 v1, v5, v6, v1
	v_sub_co_u32_e32 v4, vcc, v10, v4
	v_subb_co_u32_e32 v1, vcc, v8, v1, vcc
	v_mul_lo_u32 v1, v1, s50
	v_mul_lo_u32 v5, v4, s42
	v_mad_u64_u32 v[6:7], s[2:3], v4, s50, 0
	v_mov_b32_e32 v4, v2
	v_add3_u32 v7, v7, v5, v1
	v_or_b32_e32 v5, s36, v7
	v_cmp_ne_u64_e32 vcc, 0, v[4:5]
                                        ; implicit-def: $vgpr4_vgpr5
	s_and_saveexec_b64 s[2:3], vcc
	s_xor_b64 s[4:5], exec, s[2:3]
	s_cbranch_execz .LBB1_21
; %bb.20:                               ;   in Loop: Header=BB1_15 Depth=1
	s_ashr_i32 s12, s36, 31
	s_add_u32 s2, s37, s12
	s_mov_b32 s13, s12
	s_addc_u32 s3, s36, s12
	s_xor_b64 s[16:17], s[2:3], s[12:13]
	v_cvt_f32_u32_e32 v1, s16
	v_cvt_f32_u32_e32 v4, s17
	s_sub_u32 s9, 0, s16
	s_subb_u32 s13, 0, s17
	v_mac_f32_e32 v1, 0x4f800000, v4
	v_rcp_f32_e32 v1, v1
	v_mul_f32_e32 v1, 0x5f7ffffc, v1
	v_mul_f32_e32 v4, 0x2f800000, v1
	v_trunc_f32_e32 v4, v4
	v_mac_f32_e32 v1, 0xcf800000, v4
	v_cvt_u32_f32_e32 v4, v4
	v_cvt_u32_f32_e32 v1, v1
	v_readfirstlane_b32 s26, v4
	v_readfirstlane_b32 s2, v1
	s_mul_i32 s3, s9, s26
	s_mul_hi_u32 s28, s9, s2
	s_mul_i32 s27, s13, s2
	s_add_i32 s3, s28, s3
	s_add_i32 s3, s3, s27
	s_mul_i32 s29, s9, s2
	s_mul_i32 s28, s2, s3
	s_mul_hi_u32 s30, s2, s29
	s_mul_hi_u32 s27, s2, s3
	s_add_u32 s28, s30, s28
	s_addc_u32 s27, 0, s27
	s_mul_hi_u32 s31, s26, s29
	s_mul_i32 s29, s26, s29
	s_add_u32 s28, s28, s29
	s_mul_hi_u32 s30, s26, s3
	s_addc_u32 s27, s27, s31
	s_addc_u32 s28, s30, 0
	s_mul_i32 s3, s26, s3
	s_add_u32 s3, s27, s3
	s_addc_u32 s27, 0, s28
	s_add_u32 s28, s2, s3
	s_cselect_b64 s[2:3], -1, 0
	s_cmp_lg_u64 s[2:3], 0
	s_addc_u32 s26, s26, s27
	s_mul_i32 s2, s9, s26
	s_mul_hi_u32 s3, s9, s28
	s_add_i32 s2, s3, s2
	s_mul_i32 s13, s13, s28
	s_add_i32 s2, s2, s13
	s_mul_i32 s9, s9, s28
	s_mul_hi_u32 s13, s26, s9
	s_mul_i32 s27, s26, s9
	s_mul_i32 s30, s28, s2
	s_mul_hi_u32 s9, s28, s9
	s_mul_hi_u32 s29, s28, s2
	s_add_u32 s9, s9, s30
	s_addc_u32 s29, 0, s29
	s_add_u32 s9, s9, s27
	s_mul_hi_u32 s3, s26, s2
	s_addc_u32 s9, s29, s13
	s_addc_u32 s3, s3, 0
	s_mul_i32 s2, s26, s2
	s_add_u32 s2, s9, s2
	s_addc_u32 s9, 0, s3
	s_add_u32 s13, s28, s2
	s_cselect_b64 s[2:3], -1, 0
	v_ashrrev_i32_e32 v1, 31, v7
	s_cmp_lg_u64 s[2:3], 0
	v_add_co_u32_e32 v4, vcc, v6, v1
	s_addc_u32 s9, s26, s9
	v_xor_b32_e32 v9, v4, v1
	v_addc_co_u32_e32 v6, vcc, v7, v1, vcc
	v_mad_u64_u32 v[4:5], s[2:3], v9, s9, 0
	v_mul_hi_u32 v7, v9, s13
	v_xor_b32_e32 v13, v6, v1
	v_xor_b32_e32 v1, s12, v1
	v_add_co_u32_e32 v14, vcc, v7, v4
	v_addc_co_u32_e32 v15, vcc, 0, v5, vcc
	v_mad_u64_u32 v[4:5], s[2:3], v13, s13, 0
	v_mad_u64_u32 v[6:7], s[2:3], v13, s9, 0
	v_add_co_u32_e32 v4, vcc, v14, v4
	v_addc_co_u32_e32 v4, vcc, v15, v5, vcc
	v_addc_co_u32_e32 v5, vcc, 0, v7, vcc
	v_add_co_u32_e32 v6, vcc, v4, v6
	v_addc_co_u32_e32 v4, vcc, 0, v5, vcc
	v_mul_lo_u32 v7, s17, v6
	v_mul_lo_u32 v14, s16, v4
	v_mad_u64_u32 v[4:5], s[2:3], s16, v6, 0
	v_add3_u32 v5, v5, v14, v7
	v_sub_u32_e32 v7, v13, v5
	v_mov_b32_e32 v14, s17
	v_sub_co_u32_e32 v4, vcc, v9, v4
	v_subb_co_u32_e64 v7, s[2:3], v7, v14, vcc
	v_subrev_co_u32_e64 v9, s[2:3], s16, v4
	v_subbrev_co_u32_e64 v7, s[2:3], 0, v7, s[2:3]
	v_cmp_le_u32_e64 s[2:3], s17, v7
	v_subb_co_u32_e32 v5, vcc, v13, v5, vcc
	v_cndmask_b32_e64 v14, 0, -1, s[2:3]
	v_cmp_le_u32_e64 s[2:3], s16, v9
	v_cmp_le_u32_e32 vcc, s17, v5
	v_cndmask_b32_e64 v9, 0, -1, s[2:3]
	v_cmp_eq_u32_e64 s[2:3], s17, v7
	v_cndmask_b32_e64 v13, 0, -1, vcc
	v_cmp_le_u32_e32 vcc, s16, v4
	v_cndmask_b32_e64 v7, v14, v9, s[2:3]
	v_cndmask_b32_e64 v4, 0, -1, vcc
	v_cmp_eq_u32_e32 vcc, s17, v5
	v_add_co_u32_e64 v9, s[2:3], 2, v6
	v_add_co_u32_e64 v14, s[2:3], 1, v6
	v_cndmask_b32_e32 v4, v13, v4, vcc
	v_cmp_ne_u32_e32 vcc, 0, v7
	v_cndmask_b32_e32 v5, v14, v9, vcc
	v_cmp_ne_u32_e32 vcc, 0, v4
	v_cndmask_b32_e32 v4, v6, v5, vcc
	v_xor_b32_e32 v4, v4, v1
	v_sub_co_u32_e32 v4, vcc, v4, v1
                                        ; implicit-def: $vgpr6_vgpr7
.LBB1_21:                               ;   in Loop: Header=BB1_15 Depth=1
	s_andn2_saveexec_b64 s[2:3], s[4:5]
	s_cbranch_execz .LBB1_23
; %bb.22:                               ;   in Loop: Header=BB1_15 Depth=1
	v_mul_hi_u32 v1, v6, v12
	v_mul_lo_u32 v4, v1, s37
	v_add_u32_e32 v5, 1, v1
	v_sub_u32_e32 v4, v6, v4
	v_subrev_u32_e32 v6, s37, v4
	v_cmp_le_u32_e32 vcc, s37, v4
	v_cndmask_b32_e32 v4, v4, v6, vcc
	v_cndmask_b32_e32 v1, v1, v5, vcc
	v_add_u32_e32 v5, 1, v1
	v_cmp_le_u32_e32 vcc, s37, v4
	v_cndmask_b32_e32 v4, v1, v5, vcc
.LBB1_23:                               ;   in Loop: Header=BB1_15 Depth=1
	s_or_b64 exec, exec, s[2:3]
	v_add_co_u32_e32 v1, vcc, 1, v10
	v_addc_co_u32_e32 v5, vcc, 0, v8, vcc
	v_mul_lo_u32 v7, v1, s42
	v_mul_lo_u32 v8, v5, s50
	v_mad_u64_u32 v[5:6], s[2:3], v1, s50, -1
	v_add3_u32 v6, v8, v6, v7
	v_or_b32_e32 v8, s36, v6
	v_mov_b32_e32 v7, v2
	v_cmp_ne_u64_e32 vcc, 0, v[7:8]
                                        ; implicit-def: $vgpr7_vgpr8
	s_and_saveexec_b64 s[2:3], vcc
	s_xor_b64 s[4:5], exec, s[2:3]
	s_cbranch_execnz .LBB1_26
; %bb.24:                               ;   in Loop: Header=BB1_15 Depth=1
	s_andn2_saveexec_b64 s[2:3], s[4:5]
	s_cbranch_execnz .LBB1_27
.LBB1_25:                               ;   in Loop: Header=BB1_15 Depth=1
	s_or_b64 exec, exec, s[2:3]
	s_and_saveexec_b64 s[12:13], s[0:1]
	s_cbranch_execz .LBB1_14
	s_branch .LBB1_28
.LBB1_26:                               ;   in Loop: Header=BB1_15 Depth=1
	s_ashr_i32 s12, s36, 31
	s_add_u32 s2, s37, s12
	s_mov_b32 s13, s12
	s_addc_u32 s3, s36, s12
	s_xor_b64 s[16:17], s[2:3], s[12:13]
	v_cvt_f32_u32_e32 v1, s16
	v_cvt_f32_u32_e32 v7, s17
	s_sub_u32 s9, 0, s16
	s_subb_u32 s13, 0, s17
	v_mac_f32_e32 v1, 0x4f800000, v7
	v_rcp_f32_e32 v1, v1
	v_mul_f32_e32 v1, 0x5f7ffffc, v1
	v_mul_f32_e32 v7, 0x2f800000, v1
	v_trunc_f32_e32 v7, v7
	v_mac_f32_e32 v1, 0xcf800000, v7
	v_cvt_u32_f32_e32 v7, v7
	v_cvt_u32_f32_e32 v1, v1
	v_readfirstlane_b32 s26, v7
	v_readfirstlane_b32 s2, v1
	s_mul_i32 s3, s9, s26
	s_mul_hi_u32 s28, s9, s2
	s_mul_i32 s27, s13, s2
	s_add_i32 s3, s28, s3
	s_add_i32 s3, s3, s27
	s_mul_i32 s29, s9, s2
	s_mul_i32 s28, s2, s3
	s_mul_hi_u32 s30, s2, s29
	s_mul_hi_u32 s27, s2, s3
	s_add_u32 s28, s30, s28
	s_addc_u32 s27, 0, s27
	s_mul_hi_u32 s31, s26, s29
	s_mul_i32 s29, s26, s29
	s_add_u32 s28, s28, s29
	s_mul_hi_u32 s30, s26, s3
	s_addc_u32 s27, s27, s31
	s_addc_u32 s28, s30, 0
	s_mul_i32 s3, s26, s3
	s_add_u32 s3, s27, s3
	s_addc_u32 s27, 0, s28
	s_add_u32 s28, s2, s3
	s_cselect_b64 s[2:3], -1, 0
	s_cmp_lg_u64 s[2:3], 0
	s_addc_u32 s26, s26, s27
	s_mul_i32 s2, s9, s26
	s_mul_hi_u32 s3, s9, s28
	s_add_i32 s2, s3, s2
	s_mul_i32 s13, s13, s28
	s_add_i32 s2, s2, s13
	s_mul_i32 s9, s9, s28
	s_mul_hi_u32 s13, s26, s9
	s_mul_i32 s27, s26, s9
	s_mul_i32 s30, s28, s2
	s_mul_hi_u32 s9, s28, s9
	s_mul_hi_u32 s29, s28, s2
	s_add_u32 s9, s9, s30
	s_addc_u32 s29, 0, s29
	s_add_u32 s9, s9, s27
	s_mul_hi_u32 s3, s26, s2
	s_addc_u32 s9, s29, s13
	s_addc_u32 s3, s3, 0
	s_mul_i32 s2, s26, s2
	s_add_u32 s2, s9, s2
	s_addc_u32 s9, 0, s3
	s_add_u32 s13, s28, s2
	s_cselect_b64 s[2:3], -1, 0
	v_ashrrev_i32_e32 v1, 31, v6
	s_cmp_lg_u64 s[2:3], 0
	v_add_co_u32_e32 v5, vcc, v5, v1
	s_addc_u32 s9, s26, s9
	v_xor_b32_e32 v9, v5, v1
	v_addc_co_u32_e32 v7, vcc, v6, v1, vcc
	v_mad_u64_u32 v[5:6], s[2:3], v9, s9, 0
	v_mul_hi_u32 v8, v9, s13
	v_xor_b32_e32 v13, v7, v1
	v_xor_b32_e32 v1, s12, v1
	v_add_co_u32_e32 v14, vcc, v8, v5
	v_addc_co_u32_e32 v15, vcc, 0, v6, vcc
	v_mad_u64_u32 v[5:6], s[2:3], v13, s13, 0
	v_mad_u64_u32 v[7:8], s[2:3], v13, s9, 0
	v_add_co_u32_e32 v5, vcc, v14, v5
	v_addc_co_u32_e32 v5, vcc, v15, v6, vcc
	v_addc_co_u32_e32 v6, vcc, 0, v8, vcc
	v_add_co_u32_e32 v7, vcc, v5, v7
	v_addc_co_u32_e32 v5, vcc, 0, v6, vcc
	v_mul_lo_u32 v8, s17, v7
	v_mul_lo_u32 v14, s16, v5
	v_mad_u64_u32 v[5:6], s[2:3], s16, v7, 0
	v_add3_u32 v6, v6, v14, v8
	v_sub_u32_e32 v8, v13, v6
	v_mov_b32_e32 v14, s17
	v_sub_co_u32_e32 v5, vcc, v9, v5
	v_subb_co_u32_e64 v8, s[2:3], v8, v14, vcc
	v_subrev_co_u32_e64 v9, s[2:3], s16, v5
	v_subbrev_co_u32_e64 v8, s[2:3], 0, v8, s[2:3]
	v_cmp_le_u32_e64 s[2:3], s17, v8
	v_subb_co_u32_e32 v6, vcc, v13, v6, vcc
	v_cndmask_b32_e64 v14, 0, -1, s[2:3]
	v_cmp_le_u32_e64 s[2:3], s16, v9
	v_cmp_le_u32_e32 vcc, s17, v6
	v_cndmask_b32_e64 v9, 0, -1, s[2:3]
	v_cmp_eq_u32_e64 s[2:3], s17, v8
	v_cndmask_b32_e64 v13, 0, -1, vcc
	v_cmp_le_u32_e32 vcc, s16, v5
	v_cndmask_b32_e64 v8, v14, v9, s[2:3]
	v_cndmask_b32_e64 v5, 0, -1, vcc
	v_cmp_eq_u32_e32 vcc, s17, v6
	v_add_co_u32_e64 v9, s[2:3], 2, v7
	v_add_co_u32_e64 v14, s[2:3], 1, v7
	v_cndmask_b32_e32 v5, v13, v5, vcc
	v_cmp_ne_u32_e32 vcc, 0, v8
	v_cndmask_b32_e32 v6, v14, v9, vcc
	v_cmp_ne_u32_e32 vcc, 0, v5
	v_cndmask_b32_e32 v5, v7, v6, vcc
	v_xor_b32_e32 v5, v5, v1
	v_sub_co_u32_e32 v7, vcc, v5, v1
                                        ; implicit-def: $vgpr5_vgpr6
	s_andn2_saveexec_b64 s[2:3], s[4:5]
	s_cbranch_execz .LBB1_25
.LBB1_27:                               ;   in Loop: Header=BB1_15 Depth=1
	v_mul_hi_u32 v1, v5, v12
	v_mul_lo_u32 v6, v1, s37
	v_add_u32_e32 v7, 1, v1
	v_sub_u32_e32 v5, v5, v6
	v_subrev_u32_e32 v6, s37, v5
	v_cmp_le_u32_e32 vcc, s37, v5
	v_cndmask_b32_e32 v5, v5, v6, vcc
	v_cndmask_b32_e32 v1, v1, v7, vcc
	v_add_u32_e32 v6, 1, v1
	v_cmp_le_u32_e32 vcc, s37, v5
	v_cndmask_b32_e32 v7, v1, v6, vcc
	s_or_b64 exec, exec, s[2:3]
	s_and_saveexec_b64 s[12:13], s[0:1]
	s_cbranch_execz .LBB1_14
.LBB1_28:                               ;   in Loop: Header=BB1_15 Depth=1
	v_mad_u64_u32 v[3:4], s[2:3], v3, s50, v[4:5]
	v_mul_lo_u32 v4, v10, s25
	s_mov_b64 s[16:17], 0
	v_sub_u32_e32 v1, v7, v3
	v_add_u32_e32 v13, 1, v1
	v_ashrrev_i32_e32 v5, 31, v4
	v_lshlrev_b64 v[4:5], 2, v[4:5]
	v_mul_lo_u32 v16, v13, s33
	v_mov_b32_e32 v1, s40
	v_add_co_u32_e32 v14, vcc, s39, v4
	v_addc_co_u32_e32 v15, vcc, v1, v5, vcc
	v_cmp_lt_i32_e64 s[2:3], 0, v13
	v_mov_b32_e32 v1, v0
	s_branch .LBB1_31
.LBB1_29:                               ;   in Loop: Header=BB1_31 Depth=2
	v_mov_b32_e32 v5, 0
.LBB1_30:                               ;   in Loop: Header=BB1_31 Depth=2
	v_mul_lo_u32 v4, v16, v6
	v_cvt_f32_i32_e32 v4, v4
	v_div_scale_f32 v6, s[4:5], v4, v4, v5
	v_div_scale_f32 v7, vcc, v5, v4, v5
	v_rcp_f32_e32 v8, v6
	v_fma_f32 v9, -v6, v8, 1.0
	v_fmac_f32_e32 v8, v9, v8
	v_mul_f32_e32 v9, v7, v8
	v_fma_f32 v17, -v6, v9, v7
	v_fmac_f32_e32 v9, v17, v8
	v_fma_f32 v6, -v6, v9, v7
	v_div_fmas_f32 v8, v6, v8, v9
	v_lshlrev_b64 v[6:7], 2, v[1:2]
	v_add_u32_e32 v1, s41, v1
	v_cmp_le_i32_e32 vcc, s25, v1
	v_add_co_u32_e64 v6, s[4:5], v14, v6
	v_addc_co_u32_e64 v7, s[4:5], v15, v7, s[4:5]
	s_or_b64 s[16:17], vcc, s[16:17]
	v_div_fixup_f32 v4, v8, v4, v5
	global_store_dword v[6:7], v4, off
	s_andn2_b64 exec, exec, s[16:17]
	s_cbranch_execz .LBB1_14
.LBB1_31:                               ;   Parent Loop BB1_15 Depth=1
                                        ; =>  This Loop Header: Depth=2
                                        ;       Child Loop BB1_47 Depth 3
                                        ;         Child Loop BB1_50 Depth 4
                                        ;           Child Loop BB1_52 Depth 5
	s_mov_b32 s9, s38
	s_cmp_lg_u64 s[8:9], 0
	s_cselect_b64 s[4:5], -1, 0
                                        ; implicit-def: $vgpr4_vgpr5
	s_and_saveexec_b64 s[26:27], s[4:5]
	s_xor_b64 s[26:27], exec, s[26:27]
	s_cbranch_execz .LBB1_33
; %bb.32:                               ;   in Loop: Header=BB1_31 Depth=2
	s_ashr_i32 s28, s38, 31
	s_add_u32 s4, s48, s28
	s_mov_b32 s29, s28
	s_addc_u32 s5, s38, s28
	s_xor_b64 s[30:31], s[4:5], s[28:29]
	v_cvt_f32_u32_e32 v4, s30
	v_cvt_f32_u32_e32 v5, s31
	s_sub_u32 s9, 0, s30
	s_subb_u32 s29, 0, s31
	v_add_co_u32_e32 v8, vcc, 0, v1
	v_mac_f32_e32 v4, 0x4f800000, v5
	v_rcp_f32_e32 v4, v4
	v_mul_f32_e32 v4, 0x5f7ffffc, v4
	v_mul_f32_e32 v5, 0x2f800000, v4
	v_trunc_f32_e32 v5, v5
	v_mac_f32_e32 v4, 0xcf800000, v5
	v_cvt_u32_f32_e32 v5, v5
	v_cvt_u32_f32_e32 v4, v4
	v_readfirstlane_b32 s34, v5
	v_readfirstlane_b32 s4, v4
	s_mul_i32 s5, s9, s34
	s_mul_hi_u32 s51, s9, s4
	s_mul_i32 s35, s29, s4
	s_add_i32 s5, s51, s5
	s_add_i32 s5, s5, s35
	s_mul_i32 s52, s9, s4
	s_mul_i32 s51, s4, s5
	s_mul_hi_u32 s53, s4, s52
	s_mul_hi_u32 s35, s4, s5
	s_add_u32 s51, s53, s51
	s_addc_u32 s35, 0, s35
	s_mul_hi_u32 s54, s34, s52
	s_mul_i32 s52, s34, s52
	s_add_u32 s51, s51, s52
	s_mul_hi_u32 s53, s34, s5
	s_addc_u32 s35, s35, s54
	s_addc_u32 s51, s53, 0
	s_mul_i32 s5, s34, s5
	s_add_u32 s5, s35, s5
	s_addc_u32 s35, 0, s51
	s_add_u32 s51, s4, s5
	s_cselect_b64 s[4:5], -1, 0
	s_cmp_lg_u64 s[4:5], 0
	s_addc_u32 s34, s34, s35
	s_mul_i32 s4, s9, s34
	s_mul_hi_u32 s5, s9, s51
	s_add_i32 s4, s5, s4
	s_mul_i32 s29, s29, s51
	s_add_i32 s4, s4, s29
	s_mul_i32 s9, s9, s51
	s_mul_hi_u32 s29, s34, s9
	s_mul_i32 s35, s34, s9
	s_mul_i32 s53, s51, s4
	s_mul_hi_u32 s9, s51, s9
	s_mul_hi_u32 s52, s51, s4
	s_add_u32 s9, s9, s53
	s_addc_u32 s52, 0, s52
	s_add_u32 s9, s9, s35
	s_mul_hi_u32 s5, s34, s4
	s_addc_u32 s9, s52, s29
	s_addc_u32 s5, s5, 0
	s_mul_i32 s4, s34, s4
	s_add_u32 s4, s9, s4
	s_addc_u32 s9, 0, s5
	s_add_u32 s29, s51, s4
	s_cselect_b64 s[4:5], -1, 0
	s_cmp_lg_u64 s[4:5], 0
	s_addc_u32 s9, s34, s9
	v_mad_u64_u32 v[4:5], s[4:5], v8, s9, 0
	v_mul_hi_u32 v6, v8, s29
	v_addc_co_u32_e64 v9, s[4:5], 0, 0, vcc
	v_add_co_u32_e32 v17, vcc, v6, v4
	v_addc_co_u32_e32 v18, vcc, 0, v5, vcc
	v_mad_u64_u32 v[4:5], s[4:5], v9, s29, 0
	v_mad_u64_u32 v[6:7], s[4:5], v9, s9, 0
	v_add_co_u32_e32 v4, vcc, v17, v4
	v_addc_co_u32_e32 v4, vcc, v18, v5, vcc
	v_addc_co_u32_e32 v5, vcc, 0, v7, vcc
	v_add_co_u32_e32 v6, vcc, v4, v6
	v_addc_co_u32_e32 v7, vcc, 0, v5, vcc
	v_mul_lo_u32 v17, s31, v6
	v_mul_lo_u32 v18, s30, v7
	v_mad_u64_u32 v[4:5], s[4:5], s30, v6, 0
	v_add3_u32 v5, v5, v18, v17
	v_sub_u32_e32 v17, v9, v5
	v_mov_b32_e32 v18, s31
	v_sub_co_u32_e32 v4, vcc, v8, v4
	v_subb_co_u32_e64 v8, s[4:5], v17, v18, vcc
	v_subrev_co_u32_e64 v17, s[4:5], s30, v4
	v_subbrev_co_u32_e64 v8, s[4:5], 0, v8, s[4:5]
	v_cmp_le_u32_e64 s[4:5], s31, v8
	v_cndmask_b32_e64 v18, 0, -1, s[4:5]
	v_cmp_le_u32_e64 s[4:5], s30, v17
	v_cndmask_b32_e64 v17, 0, -1, s[4:5]
	v_cmp_eq_u32_e64 s[4:5], s31, v8
	v_cndmask_b32_e64 v8, v18, v17, s[4:5]
	v_add_co_u32_e64 v17, s[4:5], 2, v6
	v_subb_co_u32_e32 v5, vcc, v9, v5, vcc
	v_addc_co_u32_e64 v18, s[4:5], 0, v7, s[4:5]
	v_cmp_le_u32_e32 vcc, s31, v5
	v_add_co_u32_e64 v19, s[4:5], 1, v6
	v_cndmask_b32_e64 v9, 0, -1, vcc
	v_cmp_le_u32_e32 vcc, s30, v4
	v_addc_co_u32_e64 v20, s[4:5], 0, v7, s[4:5]
	v_cndmask_b32_e64 v4, 0, -1, vcc
	v_cmp_eq_u32_e32 vcc, s31, v5
	v_cmp_ne_u32_e64 s[4:5], 0, v8
	v_cndmask_b32_e32 v4, v9, v4, vcc
	v_cndmask_b32_e64 v8, v20, v18, s[4:5]
	v_cmp_ne_u32_e32 vcc, 0, v4
	v_cndmask_b32_e64 v5, v19, v17, s[4:5]
	v_cndmask_b32_e32 v4, v7, v8, vcc
	v_cndmask_b32_e32 v5, v6, v5, vcc
	v_xor_b32_e32 v6, s28, v4
	v_xor_b32_e32 v4, s28, v5
	v_mov_b32_e32 v5, s28
	v_subrev_co_u32_e32 v4, vcc, s28, v4
	v_subb_co_u32_e32 v5, vcc, v6, v5, vcc
.LBB1_33:                               ;   in Loop: Header=BB1_31 Depth=2
	s_andn2_saveexec_b64 s[4:5], s[26:27]
	s_cbranch_execz .LBB1_35
; %bb.34:                               ;   in Loop: Header=BB1_31 Depth=2
	v_cvt_f32_u32_e32 v4, s48
	s_sub_i32 s9, 0, s48
	v_rcp_iflag_f32_e32 v4, v4
	v_mul_f32_e32 v4, 0x4f7ffffe, v4
	v_cvt_u32_f32_e32 v4, v4
	v_mul_lo_u32 v5, s9, v4
	v_mul_hi_u32 v5, v4, v5
	v_add_u32_e32 v4, v4, v5
	v_mul_hi_u32 v4, v1, v4
	v_mul_lo_u32 v5, v4, s48
	v_add_u32_e32 v6, 1, v4
	v_sub_u32_e32 v5, v1, v5
	v_subrev_u32_e32 v7, s48, v5
	v_cmp_le_u32_e32 vcc, s48, v5
	v_cndmask_b32_e32 v5, v5, v7, vcc
	v_cndmask_b32_e32 v4, v4, v6, vcc
	v_add_u32_e32 v6, 1, v4
	v_cmp_le_u32_e32 vcc, s48, v5
	v_cndmask_b32_e32 v4, v4, v6, vcc
	v_mov_b32_e32 v5, v2
.LBB1_35:                               ;   in Loop: Header=BB1_31 Depth=2
	s_or_b64 exec, exec, s[4:5]
	v_mul_lo_u32 v7, v5, s48
	v_mul_lo_u32 v8, v4, s38
	v_mad_u64_u32 v[5:6], s[4:5], v4, s48, 0
	v_add3_u32 v6, v6, v8, v7
	v_sub_co_u32_e32 v5, vcc, v1, v5
	v_subb_co_u32_e32 v6, vcc, 0, v6, vcc
	v_mul_lo_u32 v6, v6, s18
	v_mul_lo_u32 v9, v5, s43
	v_mad_u64_u32 v[7:8], s[4:5], v5, s18, 0
	v_mov_b32_e32 v5, v2
	v_add3_u32 v8, v8, v9, v6
	v_or_b32_e32 v6, s38, v8
	v_cmp_ne_u64_e32 vcc, 0, v[5:6]
                                        ; implicit-def: $vgpr5_vgpr6
	s_and_saveexec_b64 s[4:5], vcc
	s_xor_b64 s[26:27], exec, s[4:5]
	s_cbranch_execz .LBB1_37
; %bb.36:                               ;   in Loop: Header=BB1_31 Depth=2
	s_ashr_i32 s28, s38, 31
	s_add_u32 s4, s48, s28
	s_mov_b32 s29, s28
	s_addc_u32 s5, s38, s28
	s_xor_b64 s[30:31], s[4:5], s[28:29]
	v_cvt_f32_u32_e32 v5, s30
	v_cvt_f32_u32_e32 v6, s31
	s_sub_u32 s9, 0, s30
	s_subb_u32 s29, 0, s31
	v_ashrrev_i32_e32 v9, 31, v8
	v_mac_f32_e32 v5, 0x4f800000, v6
	v_rcp_f32_e32 v5, v5
	v_mul_f32_e32 v5, 0x5f7ffffc, v5
	v_mul_f32_e32 v6, 0x2f800000, v5
	v_trunc_f32_e32 v6, v6
	v_mac_f32_e32 v5, 0xcf800000, v6
	v_cvt_u32_f32_e32 v6, v6
	v_cvt_u32_f32_e32 v5, v5
	v_readfirstlane_b32 s34, v6
	v_readfirstlane_b32 s4, v5
	s_mul_i32 s5, s9, s34
	s_mul_hi_u32 s51, s9, s4
	s_mul_i32 s35, s29, s4
	s_add_i32 s5, s51, s5
	s_add_i32 s5, s5, s35
	s_mul_i32 s52, s9, s4
	s_mul_i32 s51, s4, s5
	s_mul_hi_u32 s53, s4, s52
	s_mul_hi_u32 s35, s4, s5
	s_add_u32 s51, s53, s51
	s_addc_u32 s35, 0, s35
	s_mul_hi_u32 s54, s34, s52
	s_mul_i32 s52, s34, s52
	s_add_u32 s51, s51, s52
	s_mul_hi_u32 s53, s34, s5
	s_addc_u32 s35, s35, s54
	s_addc_u32 s51, s53, 0
	s_mul_i32 s5, s34, s5
	s_add_u32 s5, s35, s5
	s_addc_u32 s35, 0, s51
	s_add_u32 s51, s4, s5
	s_cselect_b64 s[4:5], -1, 0
	s_cmp_lg_u64 s[4:5], 0
	s_addc_u32 s34, s34, s35
	s_mul_i32 s4, s9, s34
	s_mul_hi_u32 s5, s9, s51
	s_add_i32 s4, s5, s4
	s_mul_i32 s29, s29, s51
	s_add_i32 s4, s4, s29
	s_mul_i32 s9, s9, s51
	s_mul_hi_u32 s29, s34, s9
	s_mul_i32 s35, s34, s9
	s_mul_i32 s53, s51, s4
	s_mul_hi_u32 s9, s51, s9
	s_mul_hi_u32 s52, s51, s4
	s_add_u32 s9, s9, s53
	s_addc_u32 s52, 0, s52
	s_add_u32 s9, s9, s35
	s_mul_hi_u32 s5, s34, s4
	s_addc_u32 s9, s52, s29
	s_addc_u32 s5, s5, 0
	s_mul_i32 s4, s34, s4
	s_add_u32 s4, s9, s4
	s_addc_u32 s9, 0, s5
	s_add_u32 s29, s51, s4
	s_cselect_b64 s[4:5], -1, 0
	s_cmp_lg_u64 s[4:5], 0
	v_add_co_u32_e32 v5, vcc, v7, v9
	s_addc_u32 s9, s34, s9
	v_xor_b32_e32 v17, v5, v9
	v_addc_co_u32_e32 v7, vcc, v8, v9, vcc
	v_mad_u64_u32 v[5:6], s[4:5], v17, s9, 0
	v_mul_hi_u32 v8, v17, s29
	v_xor_b32_e32 v18, v7, v9
	v_add_co_u32_e32 v19, vcc, v8, v5
	v_addc_co_u32_e32 v20, vcc, 0, v6, vcc
	v_mad_u64_u32 v[5:6], s[4:5], v18, s29, 0
	v_mad_u64_u32 v[7:8], s[4:5], v18, s9, 0
	v_add_co_u32_e32 v5, vcc, v19, v5
	v_addc_co_u32_e32 v5, vcc, v20, v6, vcc
	v_addc_co_u32_e32 v6, vcc, 0, v8, vcc
	v_add_co_u32_e32 v7, vcc, v5, v7
	v_addc_co_u32_e32 v5, vcc, 0, v6, vcc
	v_mul_lo_u32 v8, s31, v7
	v_mul_lo_u32 v19, s30, v5
	v_mad_u64_u32 v[5:6], s[4:5], s30, v7, 0
	v_add3_u32 v6, v6, v19, v8
	v_sub_u32_e32 v8, v18, v6
	v_mov_b32_e32 v19, s31
	v_sub_co_u32_e32 v5, vcc, v17, v5
	v_subb_co_u32_e64 v8, s[4:5], v8, v19, vcc
	v_subrev_co_u32_e64 v17, s[4:5], s30, v5
	v_subbrev_co_u32_e64 v8, s[4:5], 0, v8, s[4:5]
	v_cmp_le_u32_e64 s[4:5], s31, v8
	v_subb_co_u32_e32 v6, vcc, v18, v6, vcc
	v_cndmask_b32_e64 v19, 0, -1, s[4:5]
	v_cmp_le_u32_e64 s[4:5], s30, v17
	v_cmp_le_u32_e32 vcc, s31, v6
	v_cndmask_b32_e64 v17, 0, -1, s[4:5]
	v_cmp_eq_u32_e64 s[4:5], s31, v8
	v_cndmask_b32_e64 v18, 0, -1, vcc
	v_cmp_le_u32_e32 vcc, s30, v5
	v_cndmask_b32_e64 v8, v19, v17, s[4:5]
	v_cndmask_b32_e64 v5, 0, -1, vcc
	v_cmp_eq_u32_e32 vcc, s31, v6
	v_add_co_u32_e64 v17, s[4:5], 2, v7
	v_add_co_u32_e64 v19, s[4:5], 1, v7
	v_cndmask_b32_e32 v5, v18, v5, vcc
	v_cmp_ne_u32_e32 vcc, 0, v8
	v_cndmask_b32_e32 v6, v19, v17, vcc
	v_cmp_ne_u32_e32 vcc, 0, v5
	v_cndmask_b32_e32 v5, v7, v6, vcc
	v_xor_b32_e32 v6, s28, v9
	v_xor_b32_e32 v5, v5, v6
	v_sub_co_u32_e32 v5, vcc, v5, v6
                                        ; implicit-def: $vgpr7_vgpr8
.LBB1_37:                               ;   in Loop: Header=BB1_31 Depth=2
	s_andn2_saveexec_b64 s[4:5], s[26:27]
	s_cbranch_execz .LBB1_39
; %bb.38:                               ;   in Loop: Header=BB1_31 Depth=2
	v_cvt_f32_u32_e32 v5, s48
	s_sub_i32 s9, 0, s48
	v_rcp_iflag_f32_e32 v5, v5
	v_mul_f32_e32 v5, 0x4f7ffffe, v5
	v_cvt_u32_f32_e32 v5, v5
	v_mul_lo_u32 v6, s9, v5
	v_mul_hi_u32 v6, v5, v6
	v_add_u32_e32 v5, v5, v6
	v_mul_hi_u32 v5, v7, v5
	v_mul_lo_u32 v6, v5, s48
	v_add_u32_e32 v8, 1, v5
	v_sub_u32_e32 v6, v7, v6
	v_subrev_u32_e32 v7, s48, v6
	v_cmp_le_u32_e32 vcc, s48, v6
	v_cndmask_b32_e32 v6, v6, v7, vcc
	v_cndmask_b32_e32 v5, v5, v8, vcc
	v_add_u32_e32 v7, 1, v5
	v_cmp_le_u32_e32 vcc, s48, v6
	v_cndmask_b32_e32 v5, v5, v7, vcc
.LBB1_39:                               ;   in Loop: Header=BB1_31 Depth=2
	s_or_b64 exec, exec, s[4:5]
	v_add_u32_e32 v8, 1, v1
	v_mad_u64_u32 v[6:7], s[4:5], v8, s18, -1
	v_mad_u64_u32 v[7:8], s[4:5], v8, s43, v[7:8]
	v_mov_b32_e32 v8, v2
	v_or_b32_e32 v9, s38, v7
	v_cmp_ne_u64_e32 vcc, 0, v[8:9]
                                        ; implicit-def: $vgpr8_vgpr9
	s_and_saveexec_b64 s[4:5], vcc
	s_xor_b64 s[26:27], exec, s[4:5]
	s_cbranch_execz .LBB1_41
; %bb.40:                               ;   in Loop: Header=BB1_31 Depth=2
	s_ashr_i32 s28, s38, 31
	s_add_u32 s4, s48, s28
	s_mov_b32 s29, s28
	s_addc_u32 s5, s38, s28
	s_xor_b64 s[30:31], s[4:5], s[28:29]
	v_cvt_f32_u32_e32 v8, s30
	v_cvt_f32_u32_e32 v9, s31
	s_sub_u32 s9, 0, s30
	s_subb_u32 s29, 0, s31
	v_ashrrev_i32_e32 v17, 31, v7
	v_mac_f32_e32 v8, 0x4f800000, v9
	v_rcp_f32_e32 v8, v8
	v_add_co_u32_e32 v6, vcc, v6, v17
	v_xor_b32_e32 v18, v6, v17
	v_mul_f32_e32 v8, 0x5f7ffffc, v8
	v_mul_f32_e32 v9, 0x2f800000, v8
	v_trunc_f32_e32 v9, v9
	v_mac_f32_e32 v8, 0xcf800000, v9
	v_cvt_u32_f32_e32 v9, v9
	v_cvt_u32_f32_e32 v8, v8
	v_readfirstlane_b32 s34, v9
	v_readfirstlane_b32 s4, v8
	s_mul_i32 s5, s9, s34
	s_mul_hi_u32 s51, s9, s4
	s_mul_i32 s35, s29, s4
	s_add_i32 s5, s51, s5
	s_add_i32 s5, s5, s35
	s_mul_i32 s52, s9, s4
	s_mul_i32 s51, s4, s5
	s_mul_hi_u32 s53, s4, s52
	s_mul_hi_u32 s35, s4, s5
	s_add_u32 s51, s53, s51
	s_addc_u32 s35, 0, s35
	s_mul_hi_u32 s54, s34, s52
	s_mul_i32 s52, s34, s52
	s_add_u32 s51, s51, s52
	s_mul_hi_u32 s53, s34, s5
	s_addc_u32 s35, s35, s54
	s_addc_u32 s51, s53, 0
	s_mul_i32 s5, s34, s5
	s_add_u32 s5, s35, s5
	s_addc_u32 s35, 0, s51
	s_add_u32 s51, s4, s5
	s_cselect_b64 s[4:5], -1, 0
	s_cmp_lg_u64 s[4:5], 0
	s_addc_u32 s34, s34, s35
	s_mul_i32 s4, s9, s34
	s_mul_hi_u32 s5, s9, s51
	s_add_i32 s4, s5, s4
	s_mul_i32 s29, s29, s51
	s_add_i32 s4, s4, s29
	s_mul_i32 s9, s9, s51
	s_mul_hi_u32 s29, s34, s9
	s_mul_i32 s35, s34, s9
	s_mul_i32 s53, s51, s4
	s_mul_hi_u32 s9, s51, s9
	s_mul_hi_u32 s52, s51, s4
	s_add_u32 s9, s9, s53
	s_addc_u32 s52, 0, s52
	s_add_u32 s9, s9, s35
	s_mul_hi_u32 s5, s34, s4
	s_addc_u32 s9, s52, s29
	s_addc_u32 s5, s5, 0
	s_mul_i32 s4, s34, s4
	s_add_u32 s4, s9, s4
	s_addc_u32 s9, 0, s5
	s_add_u32 s29, s51, s4
	s_cselect_b64 s[4:5], -1, 0
	s_cmp_lg_u64 s[4:5], 0
	s_addc_u32 s9, s34, s9
	v_addc_co_u32_e32 v8, vcc, v7, v17, vcc
	v_mad_u64_u32 v[6:7], s[4:5], v18, s9, 0
	v_mul_hi_u32 v9, v18, s29
	v_xor_b32_e32 v19, v8, v17
	v_add_co_u32_e32 v20, vcc, v9, v6
	v_addc_co_u32_e32 v21, vcc, 0, v7, vcc
	v_mad_u64_u32 v[6:7], s[4:5], v19, s29, 0
	v_mad_u64_u32 v[8:9], s[4:5], v19, s9, 0
	v_add_co_u32_e32 v6, vcc, v20, v6
	v_addc_co_u32_e32 v6, vcc, v21, v7, vcc
	v_addc_co_u32_e32 v7, vcc, 0, v9, vcc
	v_add_co_u32_e32 v8, vcc, v6, v8
	v_addc_co_u32_e32 v6, vcc, 0, v7, vcc
	v_mul_lo_u32 v9, s31, v8
	v_mul_lo_u32 v20, s30, v6
	v_mad_u64_u32 v[6:7], s[4:5], s30, v8, 0
	v_add3_u32 v7, v7, v20, v9
	v_sub_u32_e32 v9, v19, v7
	v_mov_b32_e32 v20, s31
	v_sub_co_u32_e32 v6, vcc, v18, v6
	v_subb_co_u32_e64 v9, s[4:5], v9, v20, vcc
	v_subrev_co_u32_e64 v18, s[4:5], s30, v6
	v_subbrev_co_u32_e64 v9, s[4:5], 0, v9, s[4:5]
	v_cmp_le_u32_e64 s[4:5], s31, v9
	v_subb_co_u32_e32 v7, vcc, v19, v7, vcc
	v_cndmask_b32_e64 v20, 0, -1, s[4:5]
	v_cmp_le_u32_e64 s[4:5], s30, v18
	v_cmp_le_u32_e32 vcc, s31, v7
	v_cndmask_b32_e64 v18, 0, -1, s[4:5]
	v_cmp_eq_u32_e64 s[4:5], s31, v9
	v_cndmask_b32_e64 v19, 0, -1, vcc
	v_cmp_le_u32_e32 vcc, s30, v6
	v_cndmask_b32_e64 v9, v20, v18, s[4:5]
	v_cndmask_b32_e64 v6, 0, -1, vcc
	v_cmp_eq_u32_e32 vcc, s31, v7
	v_add_co_u32_e64 v18, s[4:5], 2, v8
	v_add_co_u32_e64 v20, s[4:5], 1, v8
	v_cndmask_b32_e32 v6, v19, v6, vcc
	v_cmp_ne_u32_e32 vcc, 0, v9
	v_cndmask_b32_e32 v7, v20, v18, vcc
	v_cmp_ne_u32_e32 vcc, 0, v6
	v_cndmask_b32_e32 v6, v8, v7, vcc
	v_xor_b32_e32 v7, s28, v17
	v_xor_b32_e32 v6, v6, v7
	v_sub_co_u32_e32 v8, vcc, v6, v7
                                        ; implicit-def: $vgpr6_vgpr7
.LBB1_41:                               ;   in Loop: Header=BB1_31 Depth=2
	s_andn2_saveexec_b64 s[4:5], s[26:27]
	s_cbranch_execz .LBB1_43
; %bb.42:                               ;   in Loop: Header=BB1_31 Depth=2
	v_cvt_f32_u32_e32 v7, s48
	s_sub_i32 s9, 0, s48
	v_rcp_iflag_f32_e32 v7, v7
	v_mul_f32_e32 v7, 0x4f7ffffe, v7
	v_cvt_u32_f32_e32 v7, v7
	v_mul_lo_u32 v8, s9, v7
	v_mul_hi_u32 v8, v7, v8
	v_add_u32_e32 v7, v7, v8
	v_mul_hi_u32 v7, v6, v7
	v_mul_lo_u32 v8, v7, s48
	v_add_u32_e32 v9, 1, v7
	v_sub_u32_e32 v6, v6, v8
	v_subrev_u32_e32 v8, s48, v6
	v_cmp_le_u32_e32 vcc, s48, v6
	v_cndmask_b32_e32 v6, v6, v8, vcc
	v_cndmask_b32_e32 v7, v7, v9, vcc
	v_add_u32_e32 v8, 1, v7
	v_cmp_le_u32_e32 vcc, s48, v6
	v_cndmask_b32_e32 v8, v7, v8, vcc
.LBB1_43:                               ;   in Loop: Header=BB1_31 Depth=2
	s_or_b64 exec, exec, s[4:5]
	v_mad_u64_u32 v[4:5], s[4:5], v4, s18, v[5:6]
	s_andn2_b64 vcc, exec, s[6:7]
	v_sub_u32_e32 v5, v8, v4
	v_add_u32_e32 v6, 1, v5
	s_cbranch_vccnz .LBB1_29
; %bb.44:                               ;   in Loop: Header=BB1_31 Depth=2
	s_mov_b32 s9, 0
	v_cmp_lt_i32_e32 vcc, 0, v6
	v_mov_b32_e32 v5, 0
	s_branch .LBB1_47
.LBB1_45:                               ;   in Loop: Header=BB1_47 Depth=3
	s_or_b64 exec, exec, s[28:29]
.LBB1_46:                               ;   in Loop: Header=BB1_47 Depth=3
	s_or_b64 exec, exec, s[26:27]
	s_add_i32 s9, s9, 1
	s_cmp_lt_i32 s9, s33
	s_cbranch_scc0 .LBB1_30
.LBB1_47:                               ;   Parent Loop BB1_15 Depth=1
                                        ;     Parent Loop BB1_31 Depth=2
                                        ; =>    This Loop Header: Depth=3
                                        ;         Child Loop BB1_50 Depth 4
                                        ;           Child Loop BB1_52 Depth 5
	s_and_saveexec_b64 s[26:27], s[2:3]
	s_cbranch_execz .LBB1_46
; %bb.48:                               ;   in Loop: Header=BB1_47 Depth=3
	s_add_i32 s4, s9, s19
	s_ashr_i32 s5, s4, 31
	s_mul_i32 s5, s14, s5
	s_mul_hi_u32 s28, s14, s4
	s_add_i32 s5, s28, s5
	s_mul_i32 s28, s15, s4
	s_add_i32 s5, s5, s28
	s_mul_i32 s4, s14, s4
	s_lshl_b64 s[4:5], s[4:5], 2
	s_add_u32 s51, s44, s4
	s_addc_u32 s52, s45, s5
	s_mov_b32 s53, 0
	s_mov_b64 s[28:29], 0
	s_branch .LBB1_50
.LBB1_49:                               ;   in Loop: Header=BB1_50 Depth=4
	s_or_b64 exec, exec, s[30:31]
	s_add_i32 s53, s53, 1
	v_cmp_ge_i32_e64 s[4:5], s53, v13
	s_or_b64 s[28:29], s[4:5], s[28:29]
	s_andn2_b64 exec, exec, s[28:29]
	s_cbranch_execz .LBB1_45
.LBB1_50:                               ;   Parent Loop BB1_15 Depth=1
                                        ;     Parent Loop BB1_31 Depth=2
                                        ;       Parent Loop BB1_47 Depth=3
                                        ; =>      This Loop Header: Depth=4
                                        ;           Child Loop BB1_52 Depth 5
	s_and_saveexec_b64 s[30:31], vcc
	s_cbranch_execz .LBB1_49
; %bb.51:                               ;   in Loop: Header=BB1_50 Depth=4
	v_add_u32_e32 v7, s53, v3
	v_ashrrev_i32_e32 v9, 31, v7
	v_mul_lo_u32 v17, s21, v7
	v_mad_u64_u32 v[7:8], s[4:5], s20, v7, 0
	v_mul_lo_u32 v9, s20, v9
	s_mov_b32 s54, 0
	s_mov_b64 s[34:35], 0
	v_add3_u32 v8, v8, v9, v17
	v_lshlrev_b64 v[7:8], 2, v[7:8]
	v_mov_b32_e32 v9, s52
	v_add_co_u32_e64 v7, s[4:5], s51, v7
	v_addc_co_u32_e64 v8, s[4:5], v9, v8, s[4:5]
.LBB1_52:                               ;   Parent Loop BB1_15 Depth=1
                                        ;     Parent Loop BB1_31 Depth=2
                                        ;       Parent Loop BB1_47 Depth=3
                                        ;         Parent Loop BB1_50 Depth=4
                                        ; =>        This Inner Loop Header: Depth=5
	v_add_u32_e32 v9, s54, v4
	v_ashrrev_i32_e32 v19, 31, v9
	v_mul_lo_u32 v20, s23, v9
	v_mad_u64_u32 v[17:18], s[4:5], s22, v9, 0
	v_mul_lo_u32 v9, s22, v19
	s_add_i32 s54, s54, 1
	v_add3_u32 v18, v18, v9, v20
	v_lshlrev_b64 v[17:18], 2, v[17:18]
	v_add_co_u32_e64 v17, s[4:5], v7, v17
	v_addc_co_u32_e64 v18, s[4:5], v8, v18, s[4:5]
	global_load_dword v9, v[17:18], off
	v_cmp_ge_i32_e64 s[4:5], s54, v6
	s_or_b64 s[34:35], s[4:5], s[34:35]
	s_waitcnt vmcnt(0)
	v_add_f32_e32 v5, v5, v9
	s_andn2_b64 exec, exec, s[34:35]
	s_cbranch_execnz .LBB1_52
; %bb.53:                               ;   in Loop: Header=BB1_50 Depth=4
	s_or_b64 exec, exec, s[34:35]
	s_branch .LBB1_49
.LBB1_54:
	s_endpgm
.LBB1_55:
                                        ; implicit-def: $sgpr0_sgpr1
	s_branch .LBB1_2
.LBB1_56:
                                        ; implicit-def: $sgpr28_sgpr29
	s_branch .LBB1_5
.LBB1_57:
                                        ; implicit-def: $sgpr30_sgpr31
	s_load_dword s31, s[4:5], 0x6c
	s_andn2_b64 vcc, exec, s[10:11]
	s_cbranch_vccz .LBB1_8
	s_branch .LBB1_9
.LBB1_58:
                                        ; implicit-def: $sgpr34_sgpr35
	s_load_dword s49, s[4:5], 0x64
	s_branch .LBB1_12
	.section	.rodata,"a",@progbits
	.p2align	6, 0x0
	.amdhsa_kernel _ZN2at6native12_GLOBAL__N_119adaptiveaveragepoolIffEEvPKT_PS3_iiiiiilllllll
		.amdhsa_group_segment_fixed_size 0
		.amdhsa_private_segment_fixed_size 0
		.amdhsa_kernarg_size 352
		.amdhsa_user_sgpr_count 6
		.amdhsa_user_sgpr_private_segment_buffer 1
		.amdhsa_user_sgpr_dispatch_ptr 0
		.amdhsa_user_sgpr_queue_ptr 0
		.amdhsa_user_sgpr_kernarg_segment_ptr 1
		.amdhsa_user_sgpr_dispatch_id 0
		.amdhsa_user_sgpr_flat_scratch_init 0
		.amdhsa_user_sgpr_private_segment_size 0
		.amdhsa_uses_dynamic_stack 0
		.amdhsa_system_sgpr_private_segment_wavefront_offset 0
		.amdhsa_system_sgpr_workgroup_id_x 1
		.amdhsa_system_sgpr_workgroup_id_y 1
		.amdhsa_system_sgpr_workgroup_id_z 0
		.amdhsa_system_sgpr_workgroup_info 0
		.amdhsa_system_vgpr_workitem_id 1
		.amdhsa_next_free_vgpr 22
		.amdhsa_next_free_sgpr 55
		.amdhsa_reserve_vcc 1
		.amdhsa_reserve_flat_scratch 0
		.amdhsa_float_round_mode_32 0
		.amdhsa_float_round_mode_16_64 0
		.amdhsa_float_denorm_mode_32 3
		.amdhsa_float_denorm_mode_16_64 3
		.amdhsa_dx10_clamp 1
		.amdhsa_ieee_mode 1
		.amdhsa_fp16_overflow 0
		.amdhsa_exception_fp_ieee_invalid_op 0
		.amdhsa_exception_fp_denorm_src 0
		.amdhsa_exception_fp_ieee_div_zero 0
		.amdhsa_exception_fp_ieee_overflow 0
		.amdhsa_exception_fp_ieee_underflow 0
		.amdhsa_exception_fp_ieee_inexact 0
		.amdhsa_exception_int_div_zero 0
	.end_amdhsa_kernel
	.section	.text._ZN2at6native12_GLOBAL__N_119adaptiveaveragepoolIffEEvPKT_PS3_iiiiiilllllll,"axG",@progbits,_ZN2at6native12_GLOBAL__N_119adaptiveaveragepoolIffEEvPKT_PS3_iiiiiilllllll,comdat
.Lfunc_end1:
	.size	_ZN2at6native12_GLOBAL__N_119adaptiveaveragepoolIffEEvPKT_PS3_iiiiiilllllll, .Lfunc_end1-_ZN2at6native12_GLOBAL__N_119adaptiveaveragepoolIffEEvPKT_PS3_iiiiiilllllll
                                        ; -- End function
	.set _ZN2at6native12_GLOBAL__N_119adaptiveaveragepoolIffEEvPKT_PS3_iiiiiilllllll.num_vgpr, 22
	.set _ZN2at6native12_GLOBAL__N_119adaptiveaveragepoolIffEEvPKT_PS3_iiiiiilllllll.num_agpr, 0
	.set _ZN2at6native12_GLOBAL__N_119adaptiveaveragepoolIffEEvPKT_PS3_iiiiiilllllll.numbered_sgpr, 55
	.set _ZN2at6native12_GLOBAL__N_119adaptiveaveragepoolIffEEvPKT_PS3_iiiiiilllllll.num_named_barrier, 0
	.set _ZN2at6native12_GLOBAL__N_119adaptiveaveragepoolIffEEvPKT_PS3_iiiiiilllllll.private_seg_size, 0
	.set _ZN2at6native12_GLOBAL__N_119adaptiveaveragepoolIffEEvPKT_PS3_iiiiiilllllll.uses_vcc, 1
	.set _ZN2at6native12_GLOBAL__N_119adaptiveaveragepoolIffEEvPKT_PS3_iiiiiilllllll.uses_flat_scratch, 0
	.set _ZN2at6native12_GLOBAL__N_119adaptiveaveragepoolIffEEvPKT_PS3_iiiiiilllllll.has_dyn_sized_stack, 0
	.set _ZN2at6native12_GLOBAL__N_119adaptiveaveragepoolIffEEvPKT_PS3_iiiiiilllllll.has_recursion, 0
	.set _ZN2at6native12_GLOBAL__N_119adaptiveaveragepoolIffEEvPKT_PS3_iiiiiilllllll.has_indirect_call, 0
	.section	.AMDGPU.csdata,"",@progbits
; Kernel info:
; codeLenInByte = 7724
; TotalNumSgprs: 59
; NumVgprs: 22
; ScratchSize: 0
; MemoryBound: 0
; FloatMode: 240
; IeeeMode: 1
; LDSByteSize: 0 bytes/workgroup (compile time only)
; SGPRBlocks: 7
; VGPRBlocks: 5
; NumSGPRsForWavesPerEU: 59
; NumVGPRsForWavesPerEU: 22
; Occupancy: 10
; WaveLimiterHint : 0
; COMPUTE_PGM_RSRC2:SCRATCH_EN: 0
; COMPUTE_PGM_RSRC2:USER_SGPR: 6
; COMPUTE_PGM_RSRC2:TRAP_HANDLER: 0
; COMPUTE_PGM_RSRC2:TGID_X_EN: 1
; COMPUTE_PGM_RSRC2:TGID_Y_EN: 1
; COMPUTE_PGM_RSRC2:TGID_Z_EN: 0
; COMPUTE_PGM_RSRC2:TIDIG_COMP_CNT: 1
	.section	.text._ZN2at6native12_GLOBAL__N_119adaptiveaveragepoolIN3c104HalfEfEEvPKT_PS5_iiiiiilllllll,"axG",@progbits,_ZN2at6native12_GLOBAL__N_119adaptiveaveragepoolIN3c104HalfEfEEvPKT_PS5_iiiiiilllllll,comdat
	.globl	_ZN2at6native12_GLOBAL__N_119adaptiveaveragepoolIN3c104HalfEfEEvPKT_PS5_iiiiiilllllll ; -- Begin function _ZN2at6native12_GLOBAL__N_119adaptiveaveragepoolIN3c104HalfEfEEvPKT_PS5_iiiiiilllllll
	.p2align	8
	.type	_ZN2at6native12_GLOBAL__N_119adaptiveaveragepoolIN3c104HalfEfEEvPKT_PS5_iiiiiilllllll,@function
_ZN2at6native12_GLOBAL__N_119adaptiveaveragepoolIN3c104HalfEfEEvPKT_PS5_iiiiiilllllll: ; @_ZN2at6native12_GLOBAL__N_119adaptiveaveragepoolIN3c104HalfEfEEvPKT_PS5_iiiiiilllllll
; %bb.0:
	s_load_dwordx2 s[0:1], s[4:5], 0x58
	s_load_dwordx4 s[16:19], s[4:5], 0x10
	s_load_dwordx2 s[24:25], s[4:5], 0x20
	s_mov_b32 s8, 0
	s_waitcnt lgkmcnt(0)
	s_add_u32 s26, s0, s6
	s_addc_u32 s27, s1, 0
	s_ashr_i32 s3, s19, 31
	s_mov_b32 s2, s19
	s_or_b64 s[0:1], s[26:27], s[2:3]
	s_mov_b32 s9, s1
	s_cmp_lg_u64 s[8:9], 0
	s_cbranch_scc0 .LBB2_55
; %bb.1:
	s_ashr_i32 s0, s3, 31
	s_add_u32 s8, s2, s0
	s_mov_b32 s1, s0
	s_addc_u32 s9, s3, s0
	s_xor_b64 s[10:11], s[8:9], s[0:1]
	v_cvt_f32_u32_e32 v2, s10
	v_cvt_f32_u32_e32 v3, s11
	s_sub_u32 s6, 0, s10
	s_subb_u32 s14, 0, s11
	v_madmk_f32 v2, v3, 0x4f800000, v2
	v_rcp_f32_e32 v2, v2
	v_mul_f32_e32 v2, 0x5f7ffffc, v2
	v_mul_f32_e32 v3, 0x2f800000, v2
	v_trunc_f32_e32 v3, v3
	v_madmk_f32 v2, v3, 0xcf800000, v2
	v_cvt_u32_f32_e32 v3, v3
	v_cvt_u32_f32_e32 v2, v2
	v_readfirstlane_b32 s15, v3
	v_readfirstlane_b32 s12, v2
	s_mul_i32 s13, s6, s15
	s_mul_hi_u32 s20, s6, s12
	s_mul_i32 s19, s14, s12
	s_add_i32 s13, s20, s13
	s_add_i32 s13, s13, s19
	s_mul_i32 s21, s6, s12
	s_mul_i32 s20, s12, s13
	s_mul_hi_u32 s22, s12, s21
	s_mul_hi_u32 s19, s12, s13
	s_add_u32 s20, s22, s20
	s_addc_u32 s19, 0, s19
	s_mul_hi_u32 s23, s15, s21
	s_mul_i32 s21, s15, s21
	s_add_u32 s20, s20, s21
	s_mul_hi_u32 s22, s15, s13
	s_addc_u32 s19, s19, s23
	s_addc_u32 s20, s22, 0
	s_mul_i32 s13, s15, s13
	s_add_u32 s13, s19, s13
	s_addc_u32 s19, 0, s20
	s_add_u32 s20, s12, s13
	s_cselect_b64 s[12:13], -1, 0
	s_cmp_lg_u64 s[12:13], 0
	s_addc_u32 s15, s15, s19
	s_mul_i32 s12, s6, s15
	s_mul_hi_u32 s13, s6, s20
	s_add_i32 s12, s13, s12
	s_mul_i32 s14, s14, s20
	s_add_i32 s12, s12, s14
	s_mul_i32 s6, s6, s20
	s_mul_hi_u32 s14, s15, s6
	s_mul_i32 s19, s15, s6
	s_mul_i32 s22, s20, s12
	s_mul_hi_u32 s6, s20, s6
	s_mul_hi_u32 s21, s20, s12
	s_add_u32 s6, s6, s22
	s_addc_u32 s21, 0, s21
	s_add_u32 s6, s6, s19
	s_mul_hi_u32 s13, s15, s12
	s_addc_u32 s6, s21, s14
	s_addc_u32 s13, s13, 0
	s_mul_i32 s12, s15, s12
	s_add_u32 s6, s6, s12
	s_addc_u32 s14, 0, s13
	s_add_u32 s6, s20, s6
	s_cselect_b64 s[12:13], -1, 0
	s_cmp_lg_u64 s[12:13], 0
	s_addc_u32 s19, s15, s14
	s_ashr_i32 s12, s27, 31
	s_add_u32 s14, s26, s12
	s_mov_b32 s13, s12
	s_addc_u32 s15, s27, s12
	s_xor_b64 s[14:15], s[14:15], s[12:13]
	s_mul_i32 s21, s14, s19
	s_mul_hi_u32 s22, s14, s6
	s_mul_hi_u32 s20, s14, s19
	s_add_u32 s21, s22, s21
	s_addc_u32 s20, 0, s20
	s_mul_hi_u32 s23, s15, s6
	s_mul_i32 s6, s15, s6
	s_add_u32 s6, s21, s6
	s_mul_hi_u32 s22, s15, s19
	s_addc_u32 s6, s20, s23
	s_addc_u32 s20, s22, 0
	s_mul_i32 s19, s15, s19
	s_add_u32 s6, s6, s19
	s_addc_u32 s19, 0, s20
	s_mul_i32 s20, s10, s19
	s_mul_hi_u32 s21, s10, s6
	s_add_i32 s20, s21, s20
	s_mul_i32 s21, s11, s6
	s_add_i32 s28, s20, s21
	s_sub_i32 s22, s15, s28
	s_mul_i32 s20, s10, s6
	s_sub_u32 s14, s14, s20
	s_cselect_b64 s[20:21], -1, 0
	s_cmp_lg_u64 s[20:21], 0
	s_subb_u32 s29, s22, s11
	s_sub_u32 s30, s14, s10
	s_cselect_b64 s[22:23], -1, 0
	s_cmp_lg_u64 s[22:23], 0
	s_subb_u32 s22, s29, 0
	s_cmp_ge_u32 s22, s11
	s_cselect_b32 s23, -1, 0
	s_cmp_ge_u32 s30, s10
	s_cselect_b32 s29, -1, 0
	s_cmp_eq_u32 s22, s11
	s_cselect_b32 s22, s29, s23
	s_add_u32 s23, s6, 1
	s_addc_u32 s29, s19, 0
	s_add_u32 s30, s6, 2
	s_addc_u32 s31, s19, 0
	s_cmp_lg_u32 s22, 0
	s_cselect_b32 s22, s30, s23
	s_cselect_b32 s23, s31, s29
	s_cmp_lg_u64 s[20:21], 0
	s_subb_u32 s15, s15, s28
	s_cmp_ge_u32 s15, s11
	s_cselect_b32 s20, -1, 0
	s_cmp_ge_u32 s14, s10
	s_cselect_b32 s10, -1, 0
	s_cmp_eq_u32 s15, s11
	s_cselect_b32 s10, s10, s20
	s_cmp_lg_u32 s10, 0
	s_cselect_b32 s11, s23, s19
	s_cselect_b32 s10, s22, s6
	s_xor_b64 s[0:1], s[12:13], s[0:1]
	s_xor_b64 s[10:11], s[10:11], s[0:1]
	s_sub_u32 s0, s10, s0
	s_subb_u32 s1, s11, s1
	s_cbranch_execnz .LBB2_3
.LBB2_2:
	v_cvt_f32_u32_e32 v2, s2
	s_sub_i32 s0, 0, s2
	s_mov_b32 s1, 0
	v_rcp_iflag_f32_e32 v2, v2
	v_mul_f32_e32 v2, 0x4f7ffffe, v2
	v_cvt_u32_f32_e32 v2, v2
	v_readfirstlane_b32 s6, v2
	s_mul_i32 s0, s0, s6
	s_mul_hi_u32 s0, s6, s0
	s_add_i32 s6, s6, s0
	s_mul_hi_u32 s0, s26, s6
	s_mul_i32 s8, s0, s2
	s_sub_i32 s8, s26, s8
	s_add_i32 s6, s0, 1
	s_sub_i32 s9, s8, s2
	s_cmp_ge_u32 s8, s2
	s_cselect_b32 s0, s6, s0
	s_cselect_b32 s8, s9, s8
	s_add_i32 s6, s0, 1
	s_cmp_ge_u32 s8, s2
	s_cselect_b32 s0, s6, s0
.LBB2_3:
	s_mul_i32 s6, s0, s3
	s_mul_hi_u32 s8, s0, s2
	s_add_i32 s6, s8, s6
	s_mul_i32 s8, s1, s2
	s_add_i32 s8, s6, s8
	s_mul_i32 s6, s0, s2
	s_sub_u32 s6, s26, s6
	s_subb_u32 s20, s27, s8
	s_abs_i32 s8, s2
	v_cvt_f32_u32_e32 v2, s8
	s_sub_i32 s12, 0, s8
	s_abs_i32 s11, s6
	s_xor_b32 s9, s6, s2
	v_rcp_iflag_f32_e32 v2, v2
	s_ashr_i32 s21, s16, 31
	s_ashr_i32 s9, s9, 31
	s_mov_b32 s10, 0
	v_mul_f32_e32 v2, 0x4f7ffffe, v2
	v_cvt_u32_f32_e32 v2, v2
	v_readfirstlane_b32 s13, v2
	s_mul_i32 s12, s12, s13
	s_mul_hi_u32 s12, s13, s12
	s_add_i32 s13, s13, s12
	s_mul_hi_u32 s12, s11, s13
	s_mul_i32 s13, s12, s8
	s_sub_i32 s11, s11, s13
	s_add_i32 s13, s12, 1
	s_sub_i32 s14, s11, s8
	s_cmp_ge_u32 s11, s8
	s_cselect_b32 s12, s13, s12
	s_cselect_b32 s11, s14, s11
	s_add_i32 s13, s12, 1
	s_cmp_ge_u32 s11, s8
	s_cselect_b32 s8, s13, s12
	s_xor_b32 s8, s8, s9
	s_sub_i32 s19, s8, s9
	s_mul_i32 s8, s19, s2
	s_sub_i32 s8, s6, s8
	s_mul_hi_i32 s9, s8, s16
	s_mul_i32 s8, s8, s16
	s_or_b64 s[12:13], s[8:9], s[2:3]
	s_mov_b32 s11, s13
	s_cmp_lg_u64 s[10:11], 0
	s_cbranch_scc0 .LBB2_56
; %bb.4:
	s_ashr_i32 s10, s3, 31
	s_add_u32 s12, s2, s10
	s_mov_b32 s11, s10
	s_addc_u32 s13, s3, s10
	s_xor_b64 s[14:15], s[12:13], s[10:11]
	v_cvt_f32_u32_e32 v2, s14
	v_cvt_f32_u32_e32 v3, s15
	s_sub_u32 s28, 0, s14
	s_subb_u32 s29, 0, s15
	v_madmk_f32 v2, v3, 0x4f800000, v2
	v_rcp_f32_e32 v2, v2
	v_mul_f32_e32 v2, 0x5f7ffffc, v2
	v_mul_f32_e32 v3, 0x2f800000, v2
	v_trunc_f32_e32 v3, v3
	v_madmk_f32 v2, v3, 0xcf800000, v2
	v_cvt_u32_f32_e32 v3, v3
	v_cvt_u32_f32_e32 v2, v2
	v_readfirstlane_b32 s30, v3
	v_readfirstlane_b32 s22, v2
	s_mul_i32 s23, s28, s30
	s_mul_hi_u32 s33, s28, s22
	s_mul_i32 s31, s29, s22
	s_add_i32 s23, s33, s23
	s_add_i32 s23, s23, s31
	s_mul_i32 s34, s28, s22
	s_mul_i32 s33, s22, s23
	s_mul_hi_u32 s35, s22, s34
	s_mul_hi_u32 s31, s22, s23
	s_add_u32 s33, s35, s33
	s_addc_u32 s31, 0, s31
	s_mul_hi_u32 s36, s30, s34
	s_mul_i32 s34, s30, s34
	s_add_u32 s33, s33, s34
	s_mul_hi_u32 s35, s30, s23
	s_addc_u32 s31, s31, s36
	s_addc_u32 s33, s35, 0
	s_mul_i32 s23, s30, s23
	s_add_u32 s23, s31, s23
	s_addc_u32 s31, 0, s33
	s_add_u32 s33, s22, s23
	s_cselect_b64 s[22:23], -1, 0
	s_cmp_lg_u64 s[22:23], 0
	s_addc_u32 s30, s30, s31
	s_mul_i32 s22, s28, s30
	s_mul_hi_u32 s23, s28, s33
	s_add_i32 s22, s23, s22
	s_mul_i32 s29, s29, s33
	s_add_i32 s22, s22, s29
	s_mul_i32 s28, s28, s33
	s_mul_hi_u32 s29, s30, s28
	s_mul_i32 s31, s30, s28
	s_mul_i32 s35, s33, s22
	s_mul_hi_u32 s28, s33, s28
	s_mul_hi_u32 s34, s33, s22
	s_add_u32 s28, s28, s35
	s_addc_u32 s34, 0, s34
	s_add_u32 s28, s28, s31
	s_mul_hi_u32 s23, s30, s22
	s_addc_u32 s28, s34, s29
	s_addc_u32 s23, s23, 0
	s_mul_i32 s22, s30, s22
	s_add_u32 s22, s28, s22
	s_addc_u32 s28, 0, s23
	s_add_u32 s31, s33, s22
	s_cselect_b64 s[22:23], -1, 0
	s_cmp_lg_u64 s[22:23], 0
	s_addc_u32 s30, s30, s28
	s_ashr_i32 s22, s9, 31
	s_add_u32 s28, s8, s22
	s_mov_b32 s23, s22
	s_addc_u32 s29, s9, s22
	s_xor_b64 s[28:29], s[28:29], s[22:23]
	s_mul_i32 s33, s28, s30
	s_mul_hi_u32 s34, s28, s31
	s_mul_hi_u32 s9, s28, s30
	s_add_u32 s33, s34, s33
	s_addc_u32 s9, 0, s9
	s_mul_hi_u32 s35, s29, s31
	s_mul_i32 s31, s29, s31
	s_add_u32 s31, s33, s31
	s_mul_hi_u32 s34, s29, s30
	s_addc_u32 s9, s9, s35
	s_addc_u32 s31, s34, 0
	s_mul_i32 s30, s29, s30
	s_add_u32 s9, s9, s30
	s_addc_u32 s33, 0, s31
	s_mul_i32 s30, s14, s33
	s_mul_hi_u32 s31, s14, s9
	s_add_i32 s30, s31, s30
	s_mul_i32 s31, s15, s9
	s_add_i32 s36, s30, s31
	s_sub_i32 s34, s29, s36
	s_mul_i32 s30, s14, s9
	s_sub_u32 s28, s28, s30
	s_cselect_b64 s[30:31], -1, 0
	s_cmp_lg_u64 s[30:31], 0
	s_subb_u32 s37, s34, s15
	s_sub_u32 s38, s28, s14
	s_cselect_b64 s[34:35], -1, 0
	s_cmp_lg_u64 s[34:35], 0
	s_subb_u32 s34, s37, 0
	s_cmp_ge_u32 s34, s15
	s_cselect_b32 s35, -1, 0
	s_cmp_ge_u32 s38, s14
	s_cselect_b32 s37, -1, 0
	s_cmp_eq_u32 s34, s15
	s_cselect_b32 s34, s37, s35
	s_add_u32 s35, s9, 1
	s_addc_u32 s37, s33, 0
	s_add_u32 s38, s9, 2
	s_addc_u32 s39, s33, 0
	s_cmp_lg_u32 s34, 0
	s_cselect_b32 s34, s38, s35
	s_cselect_b32 s35, s39, s37
	s_cmp_lg_u64 s[30:31], 0
	s_subb_u32 s29, s29, s36
	s_cmp_ge_u32 s29, s15
	s_cselect_b32 s30, -1, 0
	s_cmp_ge_u32 s28, s14
	s_cselect_b32 s14, -1, 0
	s_cmp_eq_u32 s29, s15
	s_cselect_b32 s14, s14, s30
	s_cmp_lg_u32 s14, 0
	s_cselect_b32 s15, s35, s33
	s_cselect_b32 s14, s34, s9
	s_xor_b64 s[10:11], s[22:23], s[10:11]
	s_xor_b64 s[14:15], s[14:15], s[10:11]
	s_sub_u32 s28, s14, s10
	s_cbranch_execnz .LBB2_6
.LBB2_5:
	v_cvt_f32_u32_e32 v2, s2
	s_sub_i32 s9, 0, s2
	v_rcp_iflag_f32_e32 v2, v2
	v_mul_f32_e32 v2, 0x4f7ffffe, v2
	v_cvt_u32_f32_e32 v2, v2
	v_readfirstlane_b32 s10, v2
	s_mul_i32 s9, s9, s10
	s_mul_hi_u32 s9, s10, s9
	s_add_i32 s10, s10, s9
	s_mul_hi_u32 s9, s8, s10
	s_mul_i32 s11, s9, s2
	s_sub_i32 s8, s8, s11
	s_add_i32 s10, s9, 1
	s_sub_i32 s11, s8, s2
	s_cmp_ge_u32 s8, s2
	s_cselect_b32 s9, s10, s9
	s_cselect_b32 s8, s11, s8
	s_add_i32 s10, s9, 1
	s_cmp_ge_u32 s8, s2
	s_cselect_b32 s28, s10, s9
.LBB2_6:
	s_add_u32 s6, s6, 1
	s_addc_u32 s8, s20, 0
	s_mul_i32 s9, s6, s21
	s_mul_hi_u32 s10, s6, s16
	s_add_i32 s9, s10, s9
	s_mul_i32 s8, s8, s16
	s_add_i32 s9, s9, s8
	s_mul_i32 s6, s6, s16
	s_add_u32 s8, s6, -1
	s_addc_u32 s9, s9, -1
	s_or_b64 s[10:11], s[8:9], s[2:3]
	s_mov_b32 s10, 0
	s_cmp_lg_u64 s[10:11], 0
	s_mov_b64 s[10:11], -1
	s_cbranch_scc0 .LBB2_57
; %bb.7:
	s_ashr_i32 s12, s3, 31
	s_add_u32 s10, s2, s12
	s_mov_b32 s13, s12
	s_addc_u32 s11, s3, s12
	s_xor_b64 s[14:15], s[10:11], s[12:13]
	v_cvt_f32_u32_e32 v2, s14
	v_cvt_f32_u32_e32 v3, s15
	s_sub_u32 s3, 0, s14
	s_subb_u32 s6, 0, s15
	v_madmk_f32 v2, v3, 0x4f800000, v2
	v_rcp_f32_e32 v2, v2
	v_mul_f32_e32 v2, 0x5f7ffffc, v2
	v_mul_f32_e32 v3, 0x2f800000, v2
	v_trunc_f32_e32 v3, v3
	v_madmk_f32 v2, v3, 0xcf800000, v2
	v_cvt_u32_f32_e32 v3, v3
	v_cvt_u32_f32_e32 v2, v2
	v_readfirstlane_b32 s22, v3
	v_readfirstlane_b32 s20, v2
	s_mul_i32 s21, s3, s22
	s_mul_hi_u32 s29, s3, s20
	s_mul_i32 s23, s6, s20
	s_add_i32 s21, s29, s21
	s_add_i32 s21, s21, s23
	s_mul_i32 s30, s3, s20
	s_mul_i32 s29, s20, s21
	s_mul_hi_u32 s31, s20, s30
	s_mul_hi_u32 s23, s20, s21
	s_add_u32 s29, s31, s29
	s_addc_u32 s23, 0, s23
	s_mul_hi_u32 s33, s22, s30
	s_mul_i32 s30, s22, s30
	s_add_u32 s29, s29, s30
	s_mul_hi_u32 s31, s22, s21
	s_addc_u32 s23, s23, s33
	s_addc_u32 s29, s31, 0
	s_mul_i32 s21, s22, s21
	s_add_u32 s21, s23, s21
	s_addc_u32 s23, 0, s29
	s_add_u32 s29, s20, s21
	s_cselect_b64 s[20:21], -1, 0
	s_cmp_lg_u64 s[20:21], 0
	s_addc_u32 s22, s22, s23
	s_mul_i32 s20, s3, s22
	s_mul_hi_u32 s21, s3, s29
	s_add_i32 s20, s21, s20
	s_mul_i32 s6, s6, s29
	s_add_i32 s20, s20, s6
	s_mul_i32 s3, s3, s29
	s_mul_hi_u32 s21, s22, s3
	s_mul_i32 s23, s22, s3
	s_mul_i32 s31, s29, s20
	s_mul_hi_u32 s3, s29, s3
	s_mul_hi_u32 s30, s29, s20
	s_add_u32 s3, s3, s31
	s_addc_u32 s30, 0, s30
	s_add_u32 s3, s3, s23
	s_mul_hi_u32 s6, s22, s20
	s_addc_u32 s3, s30, s21
	s_addc_u32 s6, s6, 0
	s_mul_i32 s20, s22, s20
	s_add_u32 s3, s3, s20
	s_addc_u32 s6, 0, s6
	s_add_u32 s3, s29, s3
	s_cselect_b64 s[20:21], -1, 0
	s_cmp_lg_u64 s[20:21], 0
	s_addc_u32 s6, s22, s6
	s_ashr_i32 s20, s9, 31
	s_add_u32 s22, s8, s20
	s_mov_b32 s21, s20
	s_addc_u32 s23, s9, s20
	s_xor_b64 s[22:23], s[22:23], s[20:21]
	s_mul_i32 s29, s22, s6
	s_mul_hi_u32 s30, s22, s3
	s_mul_hi_u32 s9, s22, s6
	s_add_u32 s29, s30, s29
	s_addc_u32 s9, 0, s9
	s_mul_hi_u32 s31, s23, s3
	s_mul_i32 s3, s23, s3
	s_add_u32 s3, s29, s3
	s_mul_hi_u32 s30, s23, s6
	s_addc_u32 s3, s9, s31
	s_addc_u32 s9, s30, 0
	s_mul_i32 s6, s23, s6
	s_add_u32 s3, s3, s6
	s_addc_u32 s6, 0, s9
	s_mul_i32 s9, s14, s6
	s_mul_hi_u32 s29, s14, s3
	s_add_i32 s9, s29, s9
	s_mul_i32 s29, s15, s3
	s_add_i32 s9, s9, s29
	s_sub_i32 s29, s23, s9
	s_mul_i32 s30, s14, s3
	s_sub_u32 s22, s22, s30
	s_cselect_b64 s[30:31], -1, 0
	s_cmp_lg_u64 s[30:31], 0
	s_subb_u32 s29, s29, s15
	s_sub_u32 s33, s22, s14
	s_cselect_b64 s[34:35], -1, 0
	s_cmp_lg_u64 s[34:35], 0
	s_subb_u32 s29, s29, 0
	s_cmp_ge_u32 s29, s15
	s_cselect_b32 s34, -1, 0
	s_cmp_ge_u32 s33, s14
	s_cselect_b32 s33, -1, 0
	s_cmp_eq_u32 s29, s15
	s_cselect_b32 s29, s33, s34
	s_add_u32 s33, s3, 1
	s_addc_u32 s34, s6, 0
	s_add_u32 s35, s3, 2
	s_addc_u32 s36, s6, 0
	s_cmp_lg_u32 s29, 0
	s_cselect_b32 s29, s35, s33
	s_cselect_b32 s33, s36, s34
	s_cmp_lg_u64 s[30:31], 0
	s_subb_u32 s9, s23, s9
	s_cmp_ge_u32 s9, s15
	s_cselect_b32 s23, -1, 0
	s_cmp_ge_u32 s22, s14
	s_cselect_b32 s14, -1, 0
	s_cmp_eq_u32 s9, s15
	s_cselect_b32 s9, s14, s23
	s_cmp_lg_u32 s9, 0
	s_cselect_b32 s15, s33, s6
	s_cselect_b32 s14, s29, s3
	s_xor_b64 s[12:13], s[20:21], s[12:13]
	s_xor_b64 s[14:15], s[14:15], s[12:13]
	s_sub_u32 s30, s14, s12
	s_load_dword s31, s[4:5], 0x6c
	s_cbranch_execnz .LBB2_9
.LBB2_8:
	v_cvt_f32_u32_e32 v2, s2
	s_sub_i32 s3, 0, s2
	v_rcp_iflag_f32_e32 v2, v2
	v_mul_f32_e32 v2, 0x4f7ffffe, v2
	v_cvt_u32_f32_e32 v2, v2
	v_readfirstlane_b32 s6, v2
	s_mul_i32 s3, s3, s6
	s_mul_hi_u32 s3, s6, s3
	s_add_i32 s6, s6, s3
	s_mul_hi_u32 s3, s8, s6
	s_mul_i32 s9, s3, s2
	s_sub_i32 s8, s8, s9
	s_add_i32 s6, s3, 1
	s_sub_i32 s9, s8, s2
	s_cmp_ge_u32 s8, s2
	s_cselect_b32 s3, s6, s3
	s_cselect_b32 s8, s9, s8
	s_add_i32 s6, s3, 1
	s_cmp_ge_u32 s8, s2
	s_cselect_b32 s30, s6, s3
.LBB2_9:
	s_waitcnt lgkmcnt(0)
	s_lshr_b32 s29, s31, 16
	s_mul_i32 s7, s7, s29
	v_add_u32_e32 v10, s7, v1
	v_cmp_gt_i32_e32 vcc, s24, v10
	s_and_saveexec_b64 s[2:3], vcc
	s_cbranch_execz .LBB2_54
; %bb.10:
	s_load_dwordx8 s[8:15], s[4:5], 0x28
	s_load_dwordx4 s[20:23], s[4:5], 0x48
	s_bfe_i64 s[6:7], s[0:1], 0x200000
	s_mov_b32 s2, 0
	s_waitcnt lgkmcnt(0)
	s_or_b64 s[34:35], s[6:7], s[8:9]
	s_mov_b32 s3, s35
	s_cmp_lg_u64 s[2:3], 0
	s_cbranch_scc0 .LBB2_58
; %bb.11:
	s_ashr_i32 s34, s9, 31
	s_add_u32 s2, s8, s34
	s_mov_b32 s35, s34
	s_addc_u32 s3, s9, s34
	s_xor_b64 s[36:37], s[2:3], s[34:35]
	v_cvt_f32_u32_e32 v1, s36
	v_cvt_f32_u32_e32 v2, s37
	s_sub_u32 s1, 0, s36
	s_subb_u32 s33, 0, s37
	v_madmk_f32 v1, v2, 0x4f800000, v1
	v_rcp_f32_e32 v1, v1
	v_mul_f32_e32 v1, 0x5f7ffffc, v1
	v_mul_f32_e32 v2, 0x2f800000, v1
	v_trunc_f32_e32 v2, v2
	v_madmk_f32 v1, v2, 0xcf800000, v1
	v_cvt_u32_f32_e32 v2, v2
	v_cvt_u32_f32_e32 v1, v1
	v_readfirstlane_b32 s40, v2
	v_readfirstlane_b32 s38, v1
	s_mul_i32 s39, s1, s40
	s_mul_hi_u32 s42, s1, s38
	s_mul_i32 s41, s33, s38
	s_add_i32 s39, s42, s39
	s_add_i32 s39, s39, s41
	s_mul_i32 s43, s1, s38
	s_mul_i32 s42, s38, s39
	s_mul_hi_u32 s44, s38, s43
	s_mul_hi_u32 s41, s38, s39
	s_add_u32 s42, s44, s42
	s_addc_u32 s41, 0, s41
	s_mul_hi_u32 s45, s40, s43
	s_mul_i32 s43, s40, s43
	s_add_u32 s42, s42, s43
	s_mul_hi_u32 s44, s40, s39
	s_addc_u32 s41, s41, s45
	s_addc_u32 s42, s44, 0
	s_mul_i32 s39, s40, s39
	s_add_u32 s39, s41, s39
	s_addc_u32 s41, 0, s42
	s_add_u32 s42, s38, s39
	s_cselect_b64 s[38:39], -1, 0
	s_cmp_lg_u64 s[38:39], 0
	s_addc_u32 s40, s40, s41
	s_mul_i32 s38, s1, s40
	s_mul_hi_u32 s39, s1, s42
	s_add_i32 s38, s39, s38
	s_mul_i32 s33, s33, s42
	s_add_i32 s38, s38, s33
	s_mul_i32 s1, s1, s42
	s_mul_hi_u32 s39, s40, s1
	s_mul_i32 s41, s40, s1
	s_mul_i32 s44, s42, s38
	s_mul_hi_u32 s1, s42, s1
	s_mul_hi_u32 s43, s42, s38
	s_add_u32 s1, s1, s44
	s_addc_u32 s43, 0, s43
	s_add_u32 s1, s1, s41
	s_mul_hi_u32 s33, s40, s38
	s_addc_u32 s1, s43, s39
	s_addc_u32 s33, s33, 0
	s_mul_i32 s38, s40, s38
	s_add_u32 s1, s1, s38
	s_addc_u32 s33, 0, s33
	s_add_u32 s1, s42, s1
	s_cselect_b64 s[38:39], -1, 0
	s_cmp_lg_u64 s[38:39], 0
	s_addc_u32 s33, s40, s33
	s_ashr_i32 s38, s7, 31
	s_add_u32 s40, s6, s38
	s_mov_b32 s39, s38
	s_addc_u32 s41, s7, s38
	s_xor_b64 s[40:41], s[40:41], s[38:39]
	s_mul_i32 s43, s40, s33
	s_mul_hi_u32 s44, s40, s1
	s_mul_hi_u32 s42, s40, s33
	s_add_u32 s43, s44, s43
	s_addc_u32 s42, 0, s42
	s_mul_hi_u32 s45, s41, s1
	s_mul_i32 s1, s41, s1
	s_add_u32 s1, s43, s1
	s_mul_hi_u32 s44, s41, s33
	s_addc_u32 s1, s42, s45
	s_addc_u32 s42, s44, 0
	s_mul_i32 s33, s41, s33
	s_add_u32 s1, s1, s33
	s_addc_u32 s33, 0, s42
	s_mul_i32 s42, s36, s33
	s_mul_hi_u32 s43, s36, s1
	s_add_i32 s42, s43, s42
	s_mul_i32 s43, s37, s1
	s_add_i32 s46, s42, s43
	s_sub_i32 s44, s41, s46
	s_mul_i32 s42, s36, s1
	s_sub_u32 s40, s40, s42
	s_cselect_b64 s[42:43], -1, 0
	s_cmp_lg_u64 s[42:43], 0
	s_subb_u32 s47, s44, s37
	s_sub_u32 s48, s40, s36
	s_cselect_b64 s[44:45], -1, 0
	s_cmp_lg_u64 s[44:45], 0
	s_subb_u32 s44, s47, 0
	s_cmp_ge_u32 s44, s37
	s_cselect_b32 s45, -1, 0
	s_cmp_ge_u32 s48, s36
	s_cselect_b32 s47, -1, 0
	s_cmp_eq_u32 s44, s37
	s_cselect_b32 s44, s47, s45
	s_add_u32 s45, s1, 1
	s_addc_u32 s47, s33, 0
	s_add_u32 s48, s1, 2
	s_addc_u32 s49, s33, 0
	s_cmp_lg_u32 s44, 0
	s_cselect_b32 s44, s48, s45
	s_cselect_b32 s45, s49, s47
	s_cmp_lg_u64 s[42:43], 0
	s_subb_u32 s41, s41, s46
	s_cmp_ge_u32 s41, s37
	s_cselect_b32 s42, -1, 0
	s_cmp_ge_u32 s40, s36
	s_cselect_b32 s36, -1, 0
	s_cmp_eq_u32 s41, s37
	s_cselect_b32 s36, s36, s42
	s_cmp_lg_u32 s36, 0
	s_cselect_b32 s37, s45, s33
	s_cselect_b32 s36, s44, s1
	s_xor_b64 s[34:35], s[38:39], s[34:35]
	s_xor_b64 s[36:37], s[36:37], s[34:35]
	s_sub_u32 s34, s36, s34
	s_subb_u32 s35, s37, s35
	s_load_dword s49, s[4:5], 0x64
	s_cbranch_execnz .LBB2_13
.LBB2_12:
	v_cvt_f32_u32_e32 v1, s8
	s_sub_i32 s1, 0, s8
	s_mov_b32 s35, 0
	v_rcp_iflag_f32_e32 v1, v1
	v_mul_f32_e32 v1, 0x4f7ffffe, v1
	v_cvt_u32_f32_e32 v1, v1
	v_readfirstlane_b32 s2, v1
	s_mul_i32 s1, s1, s2
	s_mul_hi_u32 s1, s2, s1
	s_add_i32 s2, s2, s1
	s_mul_hi_u32 s1, s0, s2
	s_mul_i32 s3, s1, s8
	s_sub_i32 s0, s0, s3
	s_add_i32 s2, s1, 1
	s_sub_i32 s3, s0, s8
	s_cmp_ge_u32 s0, s8
	s_cselect_b32 s1, s2, s1
	s_cselect_b32 s0, s3, s0
	s_add_i32 s2, s1, 1
	s_cmp_ge_u32 s0, s8
	s_cselect_b32 s34, s2, s1
.LBB2_13:
	s_mul_i32 s19, s19, s16
	s_load_dwordx4 s[0:3], s[4:5], 0x0
	s_mul_i32 s16, s25, s24
	s_mul_hi_i32 s4, s25, s24
	s_mul_i32 s5, s16, s27
	s_mul_hi_u32 s27, s16, s26
	s_add_i32 s19, s28, s19
	s_add_i32 s5, s27, s5
	s_mul_i32 s4, s4, s26
	s_sub_i32 s33, s30, s19
	s_add_i32 s5, s5, s4
	s_mul_i32 s4, s16, s26
	s_add_i32 s33, s33, 1
	s_ashr_i32 s36, s24, 31
	s_ashr_i32 s38, s25, 31
	s_lshl_b64 s[4:5], s[4:5], 1
	s_waitcnt lgkmcnt(0)
	s_add_u32 s39, s2, s4
	s_addc_u32 s40, s3, s5
	s_mul_i32 s2, s34, s9
	s_mul_hi_u32 s3, s34, s8
	s_add_i32 s2, s3, s2
	s_mul_i32 s3, s35, s8
	s_and_b32 s41, s31, 0xffff
	s_add_i32 s2, s2, s3
	s_mul_i32 s3, s34, s8
	s_sub_u32 s4, s6, s3
	s_subb_u32 s5, s7, s2
	s_ashr_i32 s42, s17, 31
	s_ashr_i32 s43, s18, 31
	s_cmp_gt_i32 s33, 0
	s_cselect_b64 s[6:7], -1, 0
	s_bfe_i64 s[2:3], s[34:35], 0x200000
	s_mul_i32 s2, s34, s11
	s_mul_hi_u32 s8, s34, s10
	s_add_i32 s2, s8, s2
	s_mul_i32 s3, s3, s10
	s_mul_i32 s8, s4, s13
	s_mul_hi_u32 s9, s4, s12
	s_add_i32 s3, s2, s3
	s_mul_i32 s2, s34, s10
	s_add_i32 s8, s9, s8
	s_mul_i32 s5, s5, s12
	s_add_i32 s5, s8, s5
	s_lshl_b64 s[2:3], s[2:3], 1
	s_mul_i32 s4, s4, s12
	s_add_u32 s2, s0, s2
	s_addc_u32 s3, s1, s3
	s_lshl_b64 s[0:1], s[4:5], 1
	s_add_u32 s44, s2, s0
	s_addc_u32 s45, s3, s1
	s_ashr_i32 s46, s24, 31
	s_add_i32 s0, s24, s46
	s_xor_b32 s47, s0, s46
	s_mov_b32 s37, s24
	v_cvt_f32_u32_e32 v1, s47
	v_cvt_f32_u32_e32 v2, s37
	s_sub_i32 s0, 0, s47
	s_mov_b32 s48, s25
	v_rcp_iflag_f32_e32 v1, v1
	v_rcp_iflag_f32_e32 v2, v2
	s_mul_i32 s49, s49, s29
	s_mov_b32 s50, s17
	v_mul_f32_e32 v1, 0x4f7ffffe, v1
	v_cvt_u32_f32_e32 v1, v1
	v_mul_f32_e32 v2, 0x4f7ffffe, v2
	v_cvt_u32_f32_e32 v3, v2
	s_mov_b32 s8, 0
	v_mul_lo_u32 v2, s0, v1
	s_sub_i32 s0, 0, s24
	v_mul_lo_u32 v4, s0, v3
	v_cmp_gt_i32_e64 s[0:1], s25, v0
	v_mul_hi_u32 v5, v1, v2
	s_mov_b64 s[10:11], 0
	v_mul_hi_u32 v4, v3, v4
	v_mov_b32_e32 v2, 0
	v_add_u32_e32 v11, v1, v5
	v_add_u32_e32 v12, v3, v4
	s_branch .LBB2_15
.LBB2_14:                               ;   in Loop: Header=BB2_15 Depth=1
	s_or_b64 exec, exec, s[12:13]
	v_add_u32_e32 v10, s49, v10
	v_cmp_le_i32_e32 vcc, s24, v10
	s_or_b64 s[10:11], vcc, s[10:11]
	s_andn2_b64 exec, exec, s[10:11]
	s_cbranch_execz .LBB2_54
.LBB2_15:                               ; =>This Loop Header: Depth=1
                                        ;     Child Loop BB2_31 Depth 2
                                        ;       Child Loop BB2_47 Depth 3
                                        ;         Child Loop BB2_50 Depth 4
                                        ;           Child Loop BB2_52 Depth 5
	v_ashrrev_i32_e32 v8, 31, v10
	v_or_b32_e32 v4, s36, v8
	v_mov_b32_e32 v3, v2
	v_cmp_ne_u64_e32 vcc, 0, v[3:4]
                                        ; implicit-def: $vgpr3_vgpr4
	s_and_saveexec_b64 s[2:3], vcc
	s_xor_b64 s[2:3], exec, s[2:3]
	s_cbranch_execz .LBB2_17
; %bb.16:                               ;   in Loop: Header=BB2_15 Depth=1
	v_ashrrev_i32_e32 v1, 31, v10
	v_add_u32_e32 v3, v10, v1
	v_xor_b32_e32 v3, v3, v1
	v_mul_hi_u32 v4, v3, v11
	v_xor_b32_e32 v1, s46, v1
	v_mul_lo_u32 v5, v4, s47
	v_add_u32_e32 v6, 1, v4
	v_sub_u32_e32 v3, v3, v5
	v_subrev_u32_e32 v5, s47, v3
	v_cmp_le_u32_e32 vcc, s47, v3
	v_cndmask_b32_e32 v3, v3, v5, vcc
	v_cndmask_b32_e32 v4, v4, v6, vcc
	v_add_u32_e32 v5, 1, v4
	v_cmp_le_u32_e32 vcc, s47, v3
	v_cndmask_b32_e32 v3, v4, v5, vcc
	v_xor_b32_e32 v3, v3, v1
	v_sub_u32_e32 v3, v3, v1
	v_ashrrev_i32_e32 v4, 31, v3
.LBB2_17:                               ;   in Loop: Header=BB2_15 Depth=1
	s_andn2_saveexec_b64 s[2:3], s[2:3]
	s_cbranch_execz .LBB2_19
; %bb.18:                               ;   in Loop: Header=BB2_15 Depth=1
	v_mul_hi_u32 v1, v10, v12
	v_mul_lo_u32 v3, v1, s37
	v_add_u32_e32 v4, 1, v1
	v_sub_u32_e32 v3, v10, v3
	v_subrev_u32_e32 v5, s37, v3
	v_cmp_le_u32_e32 vcc, s37, v3
	v_cndmask_b32_e32 v3, v3, v5, vcc
	v_cndmask_b32_e32 v1, v1, v4, vcc
	v_add_u32_e32 v4, 1, v1
	v_cmp_le_u32_e32 vcc, s37, v3
	v_cndmask_b32_e32 v1, v1, v4, vcc
	v_mov_b32_e32 v4, v2
	v_mov_b32_e32 v3, v1
.LBB2_19:                               ;   in Loop: Header=BB2_15 Depth=1
	s_or_b64 exec, exec, s[2:3]
	v_mul_lo_u32 v1, v4, s37
	v_mul_lo_u32 v6, v3, s36
	v_mad_u64_u32 v[4:5], s[2:3], v3, s37, 0
	v_add3_u32 v1, v5, v6, v1
	v_sub_co_u32_e32 v4, vcc, v10, v4
	v_subb_co_u32_e32 v1, vcc, v8, v1, vcc
	v_mul_lo_u32 v1, v1, s50
	v_mul_lo_u32 v5, v4, s42
	v_mad_u64_u32 v[6:7], s[2:3], v4, s50, 0
	v_mov_b32_e32 v4, v2
	v_add3_u32 v7, v7, v5, v1
	v_or_b32_e32 v5, s36, v7
	v_cmp_ne_u64_e32 vcc, 0, v[4:5]
                                        ; implicit-def: $vgpr4_vgpr5
	s_and_saveexec_b64 s[2:3], vcc
	s_xor_b64 s[4:5], exec, s[2:3]
	s_cbranch_execz .LBB2_21
; %bb.20:                               ;   in Loop: Header=BB2_15 Depth=1
	s_ashr_i32 s12, s36, 31
	s_add_u32 s2, s37, s12
	s_mov_b32 s13, s12
	s_addc_u32 s3, s36, s12
	s_xor_b64 s[16:17], s[2:3], s[12:13]
	v_cvt_f32_u32_e32 v1, s16
	v_cvt_f32_u32_e32 v4, s17
	s_sub_u32 s9, 0, s16
	s_subb_u32 s13, 0, s17
	v_mac_f32_e32 v1, 0x4f800000, v4
	v_rcp_f32_e32 v1, v1
	v_mul_f32_e32 v1, 0x5f7ffffc, v1
	v_mul_f32_e32 v4, 0x2f800000, v1
	v_trunc_f32_e32 v4, v4
	v_mac_f32_e32 v1, 0xcf800000, v4
	v_cvt_u32_f32_e32 v4, v4
	v_cvt_u32_f32_e32 v1, v1
	v_readfirstlane_b32 s26, v4
	v_readfirstlane_b32 s2, v1
	s_mul_i32 s3, s9, s26
	s_mul_hi_u32 s28, s9, s2
	s_mul_i32 s27, s13, s2
	s_add_i32 s3, s28, s3
	s_add_i32 s3, s3, s27
	s_mul_i32 s29, s9, s2
	s_mul_i32 s28, s2, s3
	s_mul_hi_u32 s30, s2, s29
	s_mul_hi_u32 s27, s2, s3
	s_add_u32 s28, s30, s28
	s_addc_u32 s27, 0, s27
	s_mul_hi_u32 s31, s26, s29
	s_mul_i32 s29, s26, s29
	s_add_u32 s28, s28, s29
	s_mul_hi_u32 s30, s26, s3
	s_addc_u32 s27, s27, s31
	s_addc_u32 s28, s30, 0
	s_mul_i32 s3, s26, s3
	s_add_u32 s3, s27, s3
	s_addc_u32 s27, 0, s28
	s_add_u32 s28, s2, s3
	s_cselect_b64 s[2:3], -1, 0
	s_cmp_lg_u64 s[2:3], 0
	s_addc_u32 s26, s26, s27
	s_mul_i32 s2, s9, s26
	s_mul_hi_u32 s3, s9, s28
	s_add_i32 s2, s3, s2
	s_mul_i32 s13, s13, s28
	s_add_i32 s2, s2, s13
	s_mul_i32 s9, s9, s28
	s_mul_hi_u32 s13, s26, s9
	s_mul_i32 s27, s26, s9
	s_mul_i32 s30, s28, s2
	s_mul_hi_u32 s9, s28, s9
	s_mul_hi_u32 s29, s28, s2
	s_add_u32 s9, s9, s30
	s_addc_u32 s29, 0, s29
	s_add_u32 s9, s9, s27
	s_mul_hi_u32 s3, s26, s2
	s_addc_u32 s9, s29, s13
	s_addc_u32 s3, s3, 0
	s_mul_i32 s2, s26, s2
	s_add_u32 s2, s9, s2
	s_addc_u32 s9, 0, s3
	s_add_u32 s13, s28, s2
	s_cselect_b64 s[2:3], -1, 0
	v_ashrrev_i32_e32 v1, 31, v7
	s_cmp_lg_u64 s[2:3], 0
	v_add_co_u32_e32 v4, vcc, v6, v1
	s_addc_u32 s9, s26, s9
	v_xor_b32_e32 v9, v4, v1
	v_addc_co_u32_e32 v6, vcc, v7, v1, vcc
	v_mad_u64_u32 v[4:5], s[2:3], v9, s9, 0
	v_mul_hi_u32 v7, v9, s13
	v_xor_b32_e32 v13, v6, v1
	v_xor_b32_e32 v1, s12, v1
	v_add_co_u32_e32 v14, vcc, v7, v4
	v_addc_co_u32_e32 v15, vcc, 0, v5, vcc
	v_mad_u64_u32 v[4:5], s[2:3], v13, s13, 0
	v_mad_u64_u32 v[6:7], s[2:3], v13, s9, 0
	v_add_co_u32_e32 v4, vcc, v14, v4
	v_addc_co_u32_e32 v4, vcc, v15, v5, vcc
	v_addc_co_u32_e32 v5, vcc, 0, v7, vcc
	v_add_co_u32_e32 v6, vcc, v4, v6
	v_addc_co_u32_e32 v4, vcc, 0, v5, vcc
	v_mul_lo_u32 v7, s17, v6
	v_mul_lo_u32 v14, s16, v4
	v_mad_u64_u32 v[4:5], s[2:3], s16, v6, 0
	v_add3_u32 v5, v5, v14, v7
	v_sub_u32_e32 v7, v13, v5
	v_mov_b32_e32 v14, s17
	v_sub_co_u32_e32 v4, vcc, v9, v4
	v_subb_co_u32_e64 v7, s[2:3], v7, v14, vcc
	v_subrev_co_u32_e64 v9, s[2:3], s16, v4
	v_subbrev_co_u32_e64 v7, s[2:3], 0, v7, s[2:3]
	v_cmp_le_u32_e64 s[2:3], s17, v7
	v_subb_co_u32_e32 v5, vcc, v13, v5, vcc
	v_cndmask_b32_e64 v14, 0, -1, s[2:3]
	v_cmp_le_u32_e64 s[2:3], s16, v9
	v_cmp_le_u32_e32 vcc, s17, v5
	v_cndmask_b32_e64 v9, 0, -1, s[2:3]
	v_cmp_eq_u32_e64 s[2:3], s17, v7
	v_cndmask_b32_e64 v13, 0, -1, vcc
	v_cmp_le_u32_e32 vcc, s16, v4
	v_cndmask_b32_e64 v7, v14, v9, s[2:3]
	v_cndmask_b32_e64 v4, 0, -1, vcc
	v_cmp_eq_u32_e32 vcc, s17, v5
	v_add_co_u32_e64 v9, s[2:3], 2, v6
	v_add_co_u32_e64 v14, s[2:3], 1, v6
	v_cndmask_b32_e32 v4, v13, v4, vcc
	v_cmp_ne_u32_e32 vcc, 0, v7
	v_cndmask_b32_e32 v5, v14, v9, vcc
	v_cmp_ne_u32_e32 vcc, 0, v4
	v_cndmask_b32_e32 v4, v6, v5, vcc
	v_xor_b32_e32 v4, v4, v1
	v_sub_co_u32_e32 v4, vcc, v4, v1
                                        ; implicit-def: $vgpr6_vgpr7
.LBB2_21:                               ;   in Loop: Header=BB2_15 Depth=1
	s_andn2_saveexec_b64 s[2:3], s[4:5]
	s_cbranch_execz .LBB2_23
; %bb.22:                               ;   in Loop: Header=BB2_15 Depth=1
	v_mul_hi_u32 v1, v6, v12
	v_mul_lo_u32 v4, v1, s37
	v_add_u32_e32 v5, 1, v1
	v_sub_u32_e32 v4, v6, v4
	v_subrev_u32_e32 v6, s37, v4
	v_cmp_le_u32_e32 vcc, s37, v4
	v_cndmask_b32_e32 v4, v4, v6, vcc
	v_cndmask_b32_e32 v1, v1, v5, vcc
	v_add_u32_e32 v5, 1, v1
	v_cmp_le_u32_e32 vcc, s37, v4
	v_cndmask_b32_e32 v4, v1, v5, vcc
.LBB2_23:                               ;   in Loop: Header=BB2_15 Depth=1
	s_or_b64 exec, exec, s[2:3]
	v_add_co_u32_e32 v1, vcc, 1, v10
	v_addc_co_u32_e32 v5, vcc, 0, v8, vcc
	v_mul_lo_u32 v7, v1, s42
	v_mul_lo_u32 v8, v5, s50
	v_mad_u64_u32 v[5:6], s[2:3], v1, s50, -1
	v_add3_u32 v6, v8, v6, v7
	v_or_b32_e32 v8, s36, v6
	v_mov_b32_e32 v7, v2
	v_cmp_ne_u64_e32 vcc, 0, v[7:8]
                                        ; implicit-def: $vgpr7_vgpr8
	s_and_saveexec_b64 s[2:3], vcc
	s_xor_b64 s[4:5], exec, s[2:3]
	s_cbranch_execnz .LBB2_26
; %bb.24:                               ;   in Loop: Header=BB2_15 Depth=1
	s_andn2_saveexec_b64 s[2:3], s[4:5]
	s_cbranch_execnz .LBB2_27
.LBB2_25:                               ;   in Loop: Header=BB2_15 Depth=1
	s_or_b64 exec, exec, s[2:3]
	s_and_saveexec_b64 s[12:13], s[0:1]
	s_cbranch_execz .LBB2_14
	s_branch .LBB2_28
.LBB2_26:                               ;   in Loop: Header=BB2_15 Depth=1
	s_ashr_i32 s12, s36, 31
	s_add_u32 s2, s37, s12
	s_mov_b32 s13, s12
	s_addc_u32 s3, s36, s12
	s_xor_b64 s[16:17], s[2:3], s[12:13]
	v_cvt_f32_u32_e32 v1, s16
	v_cvt_f32_u32_e32 v7, s17
	s_sub_u32 s9, 0, s16
	s_subb_u32 s13, 0, s17
	v_mac_f32_e32 v1, 0x4f800000, v7
	v_rcp_f32_e32 v1, v1
	v_mul_f32_e32 v1, 0x5f7ffffc, v1
	v_mul_f32_e32 v7, 0x2f800000, v1
	v_trunc_f32_e32 v7, v7
	v_mac_f32_e32 v1, 0xcf800000, v7
	v_cvt_u32_f32_e32 v7, v7
	v_cvt_u32_f32_e32 v1, v1
	v_readfirstlane_b32 s26, v7
	v_readfirstlane_b32 s2, v1
	s_mul_i32 s3, s9, s26
	s_mul_hi_u32 s28, s9, s2
	s_mul_i32 s27, s13, s2
	s_add_i32 s3, s28, s3
	s_add_i32 s3, s3, s27
	s_mul_i32 s29, s9, s2
	s_mul_i32 s28, s2, s3
	s_mul_hi_u32 s30, s2, s29
	s_mul_hi_u32 s27, s2, s3
	s_add_u32 s28, s30, s28
	s_addc_u32 s27, 0, s27
	s_mul_hi_u32 s31, s26, s29
	s_mul_i32 s29, s26, s29
	s_add_u32 s28, s28, s29
	s_mul_hi_u32 s30, s26, s3
	s_addc_u32 s27, s27, s31
	s_addc_u32 s28, s30, 0
	s_mul_i32 s3, s26, s3
	s_add_u32 s3, s27, s3
	s_addc_u32 s27, 0, s28
	s_add_u32 s28, s2, s3
	s_cselect_b64 s[2:3], -1, 0
	s_cmp_lg_u64 s[2:3], 0
	s_addc_u32 s26, s26, s27
	s_mul_i32 s2, s9, s26
	s_mul_hi_u32 s3, s9, s28
	s_add_i32 s2, s3, s2
	s_mul_i32 s13, s13, s28
	s_add_i32 s2, s2, s13
	s_mul_i32 s9, s9, s28
	s_mul_hi_u32 s13, s26, s9
	s_mul_i32 s27, s26, s9
	s_mul_i32 s30, s28, s2
	s_mul_hi_u32 s9, s28, s9
	s_mul_hi_u32 s29, s28, s2
	s_add_u32 s9, s9, s30
	s_addc_u32 s29, 0, s29
	s_add_u32 s9, s9, s27
	s_mul_hi_u32 s3, s26, s2
	s_addc_u32 s9, s29, s13
	s_addc_u32 s3, s3, 0
	s_mul_i32 s2, s26, s2
	s_add_u32 s2, s9, s2
	s_addc_u32 s9, 0, s3
	s_add_u32 s13, s28, s2
	s_cselect_b64 s[2:3], -1, 0
	v_ashrrev_i32_e32 v1, 31, v6
	s_cmp_lg_u64 s[2:3], 0
	v_add_co_u32_e32 v5, vcc, v5, v1
	s_addc_u32 s9, s26, s9
	v_xor_b32_e32 v9, v5, v1
	v_addc_co_u32_e32 v7, vcc, v6, v1, vcc
	v_mad_u64_u32 v[5:6], s[2:3], v9, s9, 0
	v_mul_hi_u32 v8, v9, s13
	v_xor_b32_e32 v13, v7, v1
	v_xor_b32_e32 v1, s12, v1
	v_add_co_u32_e32 v14, vcc, v8, v5
	v_addc_co_u32_e32 v15, vcc, 0, v6, vcc
	v_mad_u64_u32 v[5:6], s[2:3], v13, s13, 0
	v_mad_u64_u32 v[7:8], s[2:3], v13, s9, 0
	v_add_co_u32_e32 v5, vcc, v14, v5
	v_addc_co_u32_e32 v5, vcc, v15, v6, vcc
	v_addc_co_u32_e32 v6, vcc, 0, v8, vcc
	v_add_co_u32_e32 v7, vcc, v5, v7
	v_addc_co_u32_e32 v5, vcc, 0, v6, vcc
	v_mul_lo_u32 v8, s17, v7
	v_mul_lo_u32 v14, s16, v5
	v_mad_u64_u32 v[5:6], s[2:3], s16, v7, 0
	v_add3_u32 v6, v6, v14, v8
	v_sub_u32_e32 v8, v13, v6
	v_mov_b32_e32 v14, s17
	v_sub_co_u32_e32 v5, vcc, v9, v5
	v_subb_co_u32_e64 v8, s[2:3], v8, v14, vcc
	v_subrev_co_u32_e64 v9, s[2:3], s16, v5
	v_subbrev_co_u32_e64 v8, s[2:3], 0, v8, s[2:3]
	v_cmp_le_u32_e64 s[2:3], s17, v8
	v_subb_co_u32_e32 v6, vcc, v13, v6, vcc
	v_cndmask_b32_e64 v14, 0, -1, s[2:3]
	v_cmp_le_u32_e64 s[2:3], s16, v9
	v_cmp_le_u32_e32 vcc, s17, v6
	v_cndmask_b32_e64 v9, 0, -1, s[2:3]
	v_cmp_eq_u32_e64 s[2:3], s17, v8
	v_cndmask_b32_e64 v13, 0, -1, vcc
	v_cmp_le_u32_e32 vcc, s16, v5
	v_cndmask_b32_e64 v8, v14, v9, s[2:3]
	v_cndmask_b32_e64 v5, 0, -1, vcc
	v_cmp_eq_u32_e32 vcc, s17, v6
	v_add_co_u32_e64 v9, s[2:3], 2, v7
	v_add_co_u32_e64 v14, s[2:3], 1, v7
	v_cndmask_b32_e32 v5, v13, v5, vcc
	v_cmp_ne_u32_e32 vcc, 0, v8
	v_cndmask_b32_e32 v6, v14, v9, vcc
	v_cmp_ne_u32_e32 vcc, 0, v5
	v_cndmask_b32_e32 v5, v7, v6, vcc
	v_xor_b32_e32 v5, v5, v1
	v_sub_co_u32_e32 v7, vcc, v5, v1
                                        ; implicit-def: $vgpr5_vgpr6
	s_andn2_saveexec_b64 s[2:3], s[4:5]
	s_cbranch_execz .LBB2_25
.LBB2_27:                               ;   in Loop: Header=BB2_15 Depth=1
	v_mul_hi_u32 v1, v5, v12
	v_mul_lo_u32 v6, v1, s37
	v_add_u32_e32 v7, 1, v1
	v_sub_u32_e32 v5, v5, v6
	v_subrev_u32_e32 v6, s37, v5
	v_cmp_le_u32_e32 vcc, s37, v5
	v_cndmask_b32_e32 v5, v5, v6, vcc
	v_cndmask_b32_e32 v1, v1, v7, vcc
	v_add_u32_e32 v6, 1, v1
	v_cmp_le_u32_e32 vcc, s37, v5
	v_cndmask_b32_e32 v7, v1, v6, vcc
	s_or_b64 exec, exec, s[2:3]
	s_and_saveexec_b64 s[12:13], s[0:1]
	s_cbranch_execz .LBB2_14
.LBB2_28:                               ;   in Loop: Header=BB2_15 Depth=1
	v_mad_u64_u32 v[3:4], s[2:3], v3, s50, v[4:5]
	v_mul_lo_u32 v4, v10, s25
	s_mov_b64 s[16:17], 0
	v_sub_u32_e32 v1, v7, v3
	v_add_u32_e32 v13, 1, v1
	v_ashrrev_i32_e32 v5, 31, v4
	v_lshlrev_b64 v[4:5], 1, v[4:5]
	v_mul_lo_u32 v16, v13, s33
	v_mov_b32_e32 v1, s40
	v_add_co_u32_e32 v14, vcc, s39, v4
	v_addc_co_u32_e32 v15, vcc, v1, v5, vcc
	v_cmp_lt_i32_e64 s[2:3], 0, v13
	v_mov_b32_e32 v1, v0
	s_branch .LBB2_31
.LBB2_29:                               ;   in Loop: Header=BB2_31 Depth=2
	v_mov_b32_e32 v5, 0
.LBB2_30:                               ;   in Loop: Header=BB2_31 Depth=2
	v_mul_lo_u32 v4, v16, v6
	v_cvt_f32_i32_e32 v4, v4
	v_div_scale_f32 v6, s[4:5], v4, v4, v5
	v_div_scale_f32 v7, vcc, v5, v4, v5
	v_rcp_f32_e32 v8, v6
	v_fma_f32 v9, -v6, v8, 1.0
	v_fmac_f32_e32 v8, v9, v8
	v_mul_f32_e32 v9, v7, v8
	v_fma_f32 v17, -v6, v9, v7
	v_fmac_f32_e32 v9, v17, v8
	v_fma_f32 v6, -v6, v9, v7
	v_div_fmas_f32 v8, v6, v8, v9
	v_lshlrev_b64 v[6:7], 1, v[1:2]
	v_add_u32_e32 v1, s41, v1
	v_add_co_u32_e32 v6, vcc, v14, v6
	v_addc_co_u32_e32 v7, vcc, v15, v7, vcc
	v_cmp_le_i32_e32 vcc, s25, v1
	s_or_b64 s[16:17], vcc, s[16:17]
	v_div_fixup_f32 v4, v8, v4, v5
	v_cvt_f16_f32_e32 v4, v4
	global_store_short v[6:7], v4, off
	s_andn2_b64 exec, exec, s[16:17]
	s_cbranch_execz .LBB2_14
.LBB2_31:                               ;   Parent Loop BB2_15 Depth=1
                                        ; =>  This Loop Header: Depth=2
                                        ;       Child Loop BB2_47 Depth 3
                                        ;         Child Loop BB2_50 Depth 4
                                        ;           Child Loop BB2_52 Depth 5
	s_mov_b32 s9, s38
	s_cmp_lg_u64 s[8:9], 0
	s_cselect_b64 s[4:5], -1, 0
                                        ; implicit-def: $vgpr4_vgpr5
	s_and_saveexec_b64 s[26:27], s[4:5]
	s_xor_b64 s[26:27], exec, s[26:27]
	s_cbranch_execz .LBB2_33
; %bb.32:                               ;   in Loop: Header=BB2_31 Depth=2
	s_ashr_i32 s28, s38, 31
	s_add_u32 s4, s48, s28
	s_mov_b32 s29, s28
	s_addc_u32 s5, s38, s28
	s_xor_b64 s[30:31], s[4:5], s[28:29]
	v_cvt_f32_u32_e32 v4, s30
	v_cvt_f32_u32_e32 v5, s31
	s_sub_u32 s9, 0, s30
	s_subb_u32 s29, 0, s31
	v_add_co_u32_e32 v8, vcc, 0, v1
	v_mac_f32_e32 v4, 0x4f800000, v5
	v_rcp_f32_e32 v4, v4
	v_mul_f32_e32 v4, 0x5f7ffffc, v4
	v_mul_f32_e32 v5, 0x2f800000, v4
	v_trunc_f32_e32 v5, v5
	v_mac_f32_e32 v4, 0xcf800000, v5
	v_cvt_u32_f32_e32 v5, v5
	v_cvt_u32_f32_e32 v4, v4
	v_readfirstlane_b32 s34, v5
	v_readfirstlane_b32 s4, v4
	s_mul_i32 s5, s9, s34
	s_mul_hi_u32 s51, s9, s4
	s_mul_i32 s35, s29, s4
	s_add_i32 s5, s51, s5
	s_add_i32 s5, s5, s35
	s_mul_i32 s52, s9, s4
	s_mul_i32 s51, s4, s5
	s_mul_hi_u32 s53, s4, s52
	s_mul_hi_u32 s35, s4, s5
	s_add_u32 s51, s53, s51
	s_addc_u32 s35, 0, s35
	s_mul_hi_u32 s54, s34, s52
	s_mul_i32 s52, s34, s52
	s_add_u32 s51, s51, s52
	s_mul_hi_u32 s53, s34, s5
	s_addc_u32 s35, s35, s54
	s_addc_u32 s51, s53, 0
	s_mul_i32 s5, s34, s5
	s_add_u32 s5, s35, s5
	s_addc_u32 s35, 0, s51
	s_add_u32 s51, s4, s5
	s_cselect_b64 s[4:5], -1, 0
	s_cmp_lg_u64 s[4:5], 0
	s_addc_u32 s34, s34, s35
	s_mul_i32 s4, s9, s34
	s_mul_hi_u32 s5, s9, s51
	s_add_i32 s4, s5, s4
	s_mul_i32 s29, s29, s51
	s_add_i32 s4, s4, s29
	s_mul_i32 s9, s9, s51
	s_mul_hi_u32 s29, s34, s9
	s_mul_i32 s35, s34, s9
	s_mul_i32 s53, s51, s4
	s_mul_hi_u32 s9, s51, s9
	s_mul_hi_u32 s52, s51, s4
	s_add_u32 s9, s9, s53
	s_addc_u32 s52, 0, s52
	s_add_u32 s9, s9, s35
	s_mul_hi_u32 s5, s34, s4
	s_addc_u32 s9, s52, s29
	s_addc_u32 s5, s5, 0
	s_mul_i32 s4, s34, s4
	s_add_u32 s4, s9, s4
	s_addc_u32 s9, 0, s5
	s_add_u32 s29, s51, s4
	s_cselect_b64 s[4:5], -1, 0
	s_cmp_lg_u64 s[4:5], 0
	s_addc_u32 s9, s34, s9
	v_mad_u64_u32 v[4:5], s[4:5], v8, s9, 0
	v_mul_hi_u32 v6, v8, s29
	v_addc_co_u32_e64 v9, s[4:5], 0, 0, vcc
	v_add_co_u32_e32 v17, vcc, v6, v4
	v_addc_co_u32_e32 v18, vcc, 0, v5, vcc
	v_mad_u64_u32 v[4:5], s[4:5], v9, s29, 0
	v_mad_u64_u32 v[6:7], s[4:5], v9, s9, 0
	v_add_co_u32_e32 v4, vcc, v17, v4
	v_addc_co_u32_e32 v4, vcc, v18, v5, vcc
	v_addc_co_u32_e32 v5, vcc, 0, v7, vcc
	v_add_co_u32_e32 v6, vcc, v4, v6
	v_addc_co_u32_e32 v7, vcc, 0, v5, vcc
	v_mul_lo_u32 v17, s31, v6
	v_mul_lo_u32 v18, s30, v7
	v_mad_u64_u32 v[4:5], s[4:5], s30, v6, 0
	v_add3_u32 v5, v5, v18, v17
	v_sub_u32_e32 v17, v9, v5
	v_mov_b32_e32 v18, s31
	v_sub_co_u32_e32 v4, vcc, v8, v4
	v_subb_co_u32_e64 v8, s[4:5], v17, v18, vcc
	v_subrev_co_u32_e64 v17, s[4:5], s30, v4
	v_subbrev_co_u32_e64 v8, s[4:5], 0, v8, s[4:5]
	v_cmp_le_u32_e64 s[4:5], s31, v8
	v_cndmask_b32_e64 v18, 0, -1, s[4:5]
	v_cmp_le_u32_e64 s[4:5], s30, v17
	v_cndmask_b32_e64 v17, 0, -1, s[4:5]
	v_cmp_eq_u32_e64 s[4:5], s31, v8
	v_cndmask_b32_e64 v8, v18, v17, s[4:5]
	v_add_co_u32_e64 v17, s[4:5], 2, v6
	v_subb_co_u32_e32 v5, vcc, v9, v5, vcc
	v_addc_co_u32_e64 v18, s[4:5], 0, v7, s[4:5]
	v_cmp_le_u32_e32 vcc, s31, v5
	v_add_co_u32_e64 v19, s[4:5], 1, v6
	v_cndmask_b32_e64 v9, 0, -1, vcc
	v_cmp_le_u32_e32 vcc, s30, v4
	v_addc_co_u32_e64 v20, s[4:5], 0, v7, s[4:5]
	v_cndmask_b32_e64 v4, 0, -1, vcc
	v_cmp_eq_u32_e32 vcc, s31, v5
	v_cmp_ne_u32_e64 s[4:5], 0, v8
	v_cndmask_b32_e32 v4, v9, v4, vcc
	v_cndmask_b32_e64 v8, v20, v18, s[4:5]
	v_cmp_ne_u32_e32 vcc, 0, v4
	v_cndmask_b32_e64 v5, v19, v17, s[4:5]
	v_cndmask_b32_e32 v4, v7, v8, vcc
	v_cndmask_b32_e32 v5, v6, v5, vcc
	v_xor_b32_e32 v6, s28, v4
	v_xor_b32_e32 v4, s28, v5
	v_mov_b32_e32 v5, s28
	v_subrev_co_u32_e32 v4, vcc, s28, v4
	v_subb_co_u32_e32 v5, vcc, v6, v5, vcc
.LBB2_33:                               ;   in Loop: Header=BB2_31 Depth=2
	s_andn2_saveexec_b64 s[4:5], s[26:27]
	s_cbranch_execz .LBB2_35
; %bb.34:                               ;   in Loop: Header=BB2_31 Depth=2
	v_cvt_f32_u32_e32 v4, s48
	s_sub_i32 s9, 0, s48
	v_rcp_iflag_f32_e32 v4, v4
	v_mul_f32_e32 v4, 0x4f7ffffe, v4
	v_cvt_u32_f32_e32 v4, v4
	v_mul_lo_u32 v5, s9, v4
	v_mul_hi_u32 v5, v4, v5
	v_add_u32_e32 v4, v4, v5
	v_mul_hi_u32 v4, v1, v4
	v_mul_lo_u32 v5, v4, s48
	v_add_u32_e32 v6, 1, v4
	v_sub_u32_e32 v5, v1, v5
	v_subrev_u32_e32 v7, s48, v5
	v_cmp_le_u32_e32 vcc, s48, v5
	v_cndmask_b32_e32 v5, v5, v7, vcc
	v_cndmask_b32_e32 v4, v4, v6, vcc
	v_add_u32_e32 v6, 1, v4
	v_cmp_le_u32_e32 vcc, s48, v5
	v_cndmask_b32_e32 v4, v4, v6, vcc
	v_mov_b32_e32 v5, v2
.LBB2_35:                               ;   in Loop: Header=BB2_31 Depth=2
	s_or_b64 exec, exec, s[4:5]
	v_mul_lo_u32 v7, v5, s48
	v_mul_lo_u32 v8, v4, s38
	v_mad_u64_u32 v[5:6], s[4:5], v4, s48, 0
	v_add3_u32 v6, v6, v8, v7
	v_sub_co_u32_e32 v5, vcc, v1, v5
	v_subb_co_u32_e32 v6, vcc, 0, v6, vcc
	v_mul_lo_u32 v6, v6, s18
	v_mul_lo_u32 v9, v5, s43
	v_mad_u64_u32 v[7:8], s[4:5], v5, s18, 0
	v_mov_b32_e32 v5, v2
	v_add3_u32 v8, v8, v9, v6
	v_or_b32_e32 v6, s38, v8
	v_cmp_ne_u64_e32 vcc, 0, v[5:6]
                                        ; implicit-def: $vgpr5_vgpr6
	s_and_saveexec_b64 s[4:5], vcc
	s_xor_b64 s[26:27], exec, s[4:5]
	s_cbranch_execz .LBB2_37
; %bb.36:                               ;   in Loop: Header=BB2_31 Depth=2
	s_ashr_i32 s28, s38, 31
	s_add_u32 s4, s48, s28
	s_mov_b32 s29, s28
	s_addc_u32 s5, s38, s28
	s_xor_b64 s[30:31], s[4:5], s[28:29]
	v_cvt_f32_u32_e32 v5, s30
	v_cvt_f32_u32_e32 v6, s31
	s_sub_u32 s9, 0, s30
	s_subb_u32 s29, 0, s31
	v_ashrrev_i32_e32 v9, 31, v8
	v_mac_f32_e32 v5, 0x4f800000, v6
	v_rcp_f32_e32 v5, v5
	v_mul_f32_e32 v5, 0x5f7ffffc, v5
	v_mul_f32_e32 v6, 0x2f800000, v5
	v_trunc_f32_e32 v6, v6
	v_mac_f32_e32 v5, 0xcf800000, v6
	v_cvt_u32_f32_e32 v6, v6
	v_cvt_u32_f32_e32 v5, v5
	v_readfirstlane_b32 s34, v6
	v_readfirstlane_b32 s4, v5
	s_mul_i32 s5, s9, s34
	s_mul_hi_u32 s51, s9, s4
	s_mul_i32 s35, s29, s4
	s_add_i32 s5, s51, s5
	s_add_i32 s5, s5, s35
	s_mul_i32 s52, s9, s4
	s_mul_i32 s51, s4, s5
	s_mul_hi_u32 s53, s4, s52
	s_mul_hi_u32 s35, s4, s5
	s_add_u32 s51, s53, s51
	s_addc_u32 s35, 0, s35
	s_mul_hi_u32 s54, s34, s52
	s_mul_i32 s52, s34, s52
	s_add_u32 s51, s51, s52
	s_mul_hi_u32 s53, s34, s5
	s_addc_u32 s35, s35, s54
	s_addc_u32 s51, s53, 0
	s_mul_i32 s5, s34, s5
	s_add_u32 s5, s35, s5
	s_addc_u32 s35, 0, s51
	s_add_u32 s51, s4, s5
	s_cselect_b64 s[4:5], -1, 0
	s_cmp_lg_u64 s[4:5], 0
	s_addc_u32 s34, s34, s35
	s_mul_i32 s4, s9, s34
	s_mul_hi_u32 s5, s9, s51
	s_add_i32 s4, s5, s4
	s_mul_i32 s29, s29, s51
	s_add_i32 s4, s4, s29
	s_mul_i32 s9, s9, s51
	s_mul_hi_u32 s29, s34, s9
	s_mul_i32 s35, s34, s9
	s_mul_i32 s53, s51, s4
	s_mul_hi_u32 s9, s51, s9
	s_mul_hi_u32 s52, s51, s4
	s_add_u32 s9, s9, s53
	s_addc_u32 s52, 0, s52
	s_add_u32 s9, s9, s35
	s_mul_hi_u32 s5, s34, s4
	s_addc_u32 s9, s52, s29
	s_addc_u32 s5, s5, 0
	s_mul_i32 s4, s34, s4
	s_add_u32 s4, s9, s4
	s_addc_u32 s9, 0, s5
	s_add_u32 s29, s51, s4
	s_cselect_b64 s[4:5], -1, 0
	s_cmp_lg_u64 s[4:5], 0
	v_add_co_u32_e32 v5, vcc, v7, v9
	s_addc_u32 s9, s34, s9
	v_xor_b32_e32 v17, v5, v9
	v_addc_co_u32_e32 v7, vcc, v8, v9, vcc
	v_mad_u64_u32 v[5:6], s[4:5], v17, s9, 0
	v_mul_hi_u32 v8, v17, s29
	v_xor_b32_e32 v18, v7, v9
	v_add_co_u32_e32 v19, vcc, v8, v5
	v_addc_co_u32_e32 v20, vcc, 0, v6, vcc
	v_mad_u64_u32 v[5:6], s[4:5], v18, s29, 0
	v_mad_u64_u32 v[7:8], s[4:5], v18, s9, 0
	v_add_co_u32_e32 v5, vcc, v19, v5
	v_addc_co_u32_e32 v5, vcc, v20, v6, vcc
	v_addc_co_u32_e32 v6, vcc, 0, v8, vcc
	v_add_co_u32_e32 v7, vcc, v5, v7
	v_addc_co_u32_e32 v5, vcc, 0, v6, vcc
	v_mul_lo_u32 v8, s31, v7
	v_mul_lo_u32 v19, s30, v5
	v_mad_u64_u32 v[5:6], s[4:5], s30, v7, 0
	v_add3_u32 v6, v6, v19, v8
	v_sub_u32_e32 v8, v18, v6
	v_mov_b32_e32 v19, s31
	v_sub_co_u32_e32 v5, vcc, v17, v5
	v_subb_co_u32_e64 v8, s[4:5], v8, v19, vcc
	v_subrev_co_u32_e64 v17, s[4:5], s30, v5
	v_subbrev_co_u32_e64 v8, s[4:5], 0, v8, s[4:5]
	v_cmp_le_u32_e64 s[4:5], s31, v8
	v_subb_co_u32_e32 v6, vcc, v18, v6, vcc
	v_cndmask_b32_e64 v19, 0, -1, s[4:5]
	v_cmp_le_u32_e64 s[4:5], s30, v17
	v_cmp_le_u32_e32 vcc, s31, v6
	v_cndmask_b32_e64 v17, 0, -1, s[4:5]
	v_cmp_eq_u32_e64 s[4:5], s31, v8
	v_cndmask_b32_e64 v18, 0, -1, vcc
	v_cmp_le_u32_e32 vcc, s30, v5
	v_cndmask_b32_e64 v8, v19, v17, s[4:5]
	v_cndmask_b32_e64 v5, 0, -1, vcc
	v_cmp_eq_u32_e32 vcc, s31, v6
	v_add_co_u32_e64 v17, s[4:5], 2, v7
	v_add_co_u32_e64 v19, s[4:5], 1, v7
	v_cndmask_b32_e32 v5, v18, v5, vcc
	v_cmp_ne_u32_e32 vcc, 0, v8
	v_cndmask_b32_e32 v6, v19, v17, vcc
	v_cmp_ne_u32_e32 vcc, 0, v5
	v_cndmask_b32_e32 v5, v7, v6, vcc
	v_xor_b32_e32 v6, s28, v9
	v_xor_b32_e32 v5, v5, v6
	v_sub_co_u32_e32 v5, vcc, v5, v6
                                        ; implicit-def: $vgpr7_vgpr8
.LBB2_37:                               ;   in Loop: Header=BB2_31 Depth=2
	s_andn2_saveexec_b64 s[4:5], s[26:27]
	s_cbranch_execz .LBB2_39
; %bb.38:                               ;   in Loop: Header=BB2_31 Depth=2
	v_cvt_f32_u32_e32 v5, s48
	s_sub_i32 s9, 0, s48
	v_rcp_iflag_f32_e32 v5, v5
	v_mul_f32_e32 v5, 0x4f7ffffe, v5
	v_cvt_u32_f32_e32 v5, v5
	v_mul_lo_u32 v6, s9, v5
	v_mul_hi_u32 v6, v5, v6
	v_add_u32_e32 v5, v5, v6
	v_mul_hi_u32 v5, v7, v5
	v_mul_lo_u32 v6, v5, s48
	v_add_u32_e32 v8, 1, v5
	v_sub_u32_e32 v6, v7, v6
	v_subrev_u32_e32 v7, s48, v6
	v_cmp_le_u32_e32 vcc, s48, v6
	v_cndmask_b32_e32 v6, v6, v7, vcc
	v_cndmask_b32_e32 v5, v5, v8, vcc
	v_add_u32_e32 v7, 1, v5
	v_cmp_le_u32_e32 vcc, s48, v6
	v_cndmask_b32_e32 v5, v5, v7, vcc
.LBB2_39:                               ;   in Loop: Header=BB2_31 Depth=2
	s_or_b64 exec, exec, s[4:5]
	v_add_u32_e32 v8, 1, v1
	v_mad_u64_u32 v[6:7], s[4:5], v8, s18, -1
	v_mad_u64_u32 v[7:8], s[4:5], v8, s43, v[7:8]
	v_mov_b32_e32 v8, v2
	v_or_b32_e32 v9, s38, v7
	v_cmp_ne_u64_e32 vcc, 0, v[8:9]
                                        ; implicit-def: $vgpr8_vgpr9
	s_and_saveexec_b64 s[4:5], vcc
	s_xor_b64 s[26:27], exec, s[4:5]
	s_cbranch_execz .LBB2_41
; %bb.40:                               ;   in Loop: Header=BB2_31 Depth=2
	s_ashr_i32 s28, s38, 31
	s_add_u32 s4, s48, s28
	s_mov_b32 s29, s28
	s_addc_u32 s5, s38, s28
	s_xor_b64 s[30:31], s[4:5], s[28:29]
	v_cvt_f32_u32_e32 v8, s30
	v_cvt_f32_u32_e32 v9, s31
	s_sub_u32 s9, 0, s30
	s_subb_u32 s29, 0, s31
	v_ashrrev_i32_e32 v17, 31, v7
	v_mac_f32_e32 v8, 0x4f800000, v9
	v_rcp_f32_e32 v8, v8
	v_add_co_u32_e32 v6, vcc, v6, v17
	v_xor_b32_e32 v18, v6, v17
	v_mul_f32_e32 v8, 0x5f7ffffc, v8
	v_mul_f32_e32 v9, 0x2f800000, v8
	v_trunc_f32_e32 v9, v9
	v_mac_f32_e32 v8, 0xcf800000, v9
	v_cvt_u32_f32_e32 v9, v9
	v_cvt_u32_f32_e32 v8, v8
	v_readfirstlane_b32 s34, v9
	v_readfirstlane_b32 s4, v8
	s_mul_i32 s5, s9, s34
	s_mul_hi_u32 s51, s9, s4
	s_mul_i32 s35, s29, s4
	s_add_i32 s5, s51, s5
	s_add_i32 s5, s5, s35
	s_mul_i32 s52, s9, s4
	s_mul_i32 s51, s4, s5
	s_mul_hi_u32 s53, s4, s52
	s_mul_hi_u32 s35, s4, s5
	s_add_u32 s51, s53, s51
	s_addc_u32 s35, 0, s35
	s_mul_hi_u32 s54, s34, s52
	s_mul_i32 s52, s34, s52
	s_add_u32 s51, s51, s52
	s_mul_hi_u32 s53, s34, s5
	s_addc_u32 s35, s35, s54
	s_addc_u32 s51, s53, 0
	s_mul_i32 s5, s34, s5
	s_add_u32 s5, s35, s5
	s_addc_u32 s35, 0, s51
	s_add_u32 s51, s4, s5
	s_cselect_b64 s[4:5], -1, 0
	s_cmp_lg_u64 s[4:5], 0
	s_addc_u32 s34, s34, s35
	s_mul_i32 s4, s9, s34
	s_mul_hi_u32 s5, s9, s51
	s_add_i32 s4, s5, s4
	s_mul_i32 s29, s29, s51
	s_add_i32 s4, s4, s29
	s_mul_i32 s9, s9, s51
	s_mul_hi_u32 s29, s34, s9
	s_mul_i32 s35, s34, s9
	s_mul_i32 s53, s51, s4
	s_mul_hi_u32 s9, s51, s9
	s_mul_hi_u32 s52, s51, s4
	s_add_u32 s9, s9, s53
	s_addc_u32 s52, 0, s52
	s_add_u32 s9, s9, s35
	s_mul_hi_u32 s5, s34, s4
	s_addc_u32 s9, s52, s29
	s_addc_u32 s5, s5, 0
	s_mul_i32 s4, s34, s4
	s_add_u32 s4, s9, s4
	s_addc_u32 s9, 0, s5
	s_add_u32 s29, s51, s4
	s_cselect_b64 s[4:5], -1, 0
	s_cmp_lg_u64 s[4:5], 0
	s_addc_u32 s9, s34, s9
	v_addc_co_u32_e32 v8, vcc, v7, v17, vcc
	v_mad_u64_u32 v[6:7], s[4:5], v18, s9, 0
	v_mul_hi_u32 v9, v18, s29
	v_xor_b32_e32 v19, v8, v17
	v_add_co_u32_e32 v20, vcc, v9, v6
	v_addc_co_u32_e32 v21, vcc, 0, v7, vcc
	v_mad_u64_u32 v[6:7], s[4:5], v19, s29, 0
	v_mad_u64_u32 v[8:9], s[4:5], v19, s9, 0
	v_add_co_u32_e32 v6, vcc, v20, v6
	v_addc_co_u32_e32 v6, vcc, v21, v7, vcc
	v_addc_co_u32_e32 v7, vcc, 0, v9, vcc
	v_add_co_u32_e32 v8, vcc, v6, v8
	v_addc_co_u32_e32 v6, vcc, 0, v7, vcc
	v_mul_lo_u32 v9, s31, v8
	v_mul_lo_u32 v20, s30, v6
	v_mad_u64_u32 v[6:7], s[4:5], s30, v8, 0
	v_add3_u32 v7, v7, v20, v9
	v_sub_u32_e32 v9, v19, v7
	v_mov_b32_e32 v20, s31
	v_sub_co_u32_e32 v6, vcc, v18, v6
	v_subb_co_u32_e64 v9, s[4:5], v9, v20, vcc
	v_subrev_co_u32_e64 v18, s[4:5], s30, v6
	v_subbrev_co_u32_e64 v9, s[4:5], 0, v9, s[4:5]
	v_cmp_le_u32_e64 s[4:5], s31, v9
	v_subb_co_u32_e32 v7, vcc, v19, v7, vcc
	v_cndmask_b32_e64 v20, 0, -1, s[4:5]
	v_cmp_le_u32_e64 s[4:5], s30, v18
	v_cmp_le_u32_e32 vcc, s31, v7
	v_cndmask_b32_e64 v18, 0, -1, s[4:5]
	v_cmp_eq_u32_e64 s[4:5], s31, v9
	v_cndmask_b32_e64 v19, 0, -1, vcc
	v_cmp_le_u32_e32 vcc, s30, v6
	v_cndmask_b32_e64 v9, v20, v18, s[4:5]
	v_cndmask_b32_e64 v6, 0, -1, vcc
	v_cmp_eq_u32_e32 vcc, s31, v7
	v_add_co_u32_e64 v18, s[4:5], 2, v8
	v_add_co_u32_e64 v20, s[4:5], 1, v8
	v_cndmask_b32_e32 v6, v19, v6, vcc
	v_cmp_ne_u32_e32 vcc, 0, v9
	v_cndmask_b32_e32 v7, v20, v18, vcc
	v_cmp_ne_u32_e32 vcc, 0, v6
	v_cndmask_b32_e32 v6, v8, v7, vcc
	v_xor_b32_e32 v7, s28, v17
	v_xor_b32_e32 v6, v6, v7
	v_sub_co_u32_e32 v8, vcc, v6, v7
                                        ; implicit-def: $vgpr6_vgpr7
.LBB2_41:                               ;   in Loop: Header=BB2_31 Depth=2
	s_andn2_saveexec_b64 s[4:5], s[26:27]
	s_cbranch_execz .LBB2_43
; %bb.42:                               ;   in Loop: Header=BB2_31 Depth=2
	v_cvt_f32_u32_e32 v7, s48
	s_sub_i32 s9, 0, s48
	v_rcp_iflag_f32_e32 v7, v7
	v_mul_f32_e32 v7, 0x4f7ffffe, v7
	v_cvt_u32_f32_e32 v7, v7
	v_mul_lo_u32 v8, s9, v7
	v_mul_hi_u32 v8, v7, v8
	v_add_u32_e32 v7, v7, v8
	v_mul_hi_u32 v7, v6, v7
	v_mul_lo_u32 v8, v7, s48
	v_add_u32_e32 v9, 1, v7
	v_sub_u32_e32 v6, v6, v8
	v_subrev_u32_e32 v8, s48, v6
	v_cmp_le_u32_e32 vcc, s48, v6
	v_cndmask_b32_e32 v6, v6, v8, vcc
	v_cndmask_b32_e32 v7, v7, v9, vcc
	v_add_u32_e32 v8, 1, v7
	v_cmp_le_u32_e32 vcc, s48, v6
	v_cndmask_b32_e32 v8, v7, v8, vcc
.LBB2_43:                               ;   in Loop: Header=BB2_31 Depth=2
	s_or_b64 exec, exec, s[4:5]
	v_mad_u64_u32 v[4:5], s[4:5], v4, s18, v[5:6]
	s_andn2_b64 vcc, exec, s[6:7]
	v_sub_u32_e32 v5, v8, v4
	v_add_u32_e32 v6, 1, v5
	s_cbranch_vccnz .LBB2_29
; %bb.44:                               ;   in Loop: Header=BB2_31 Depth=2
	s_mov_b32 s9, 0
	v_cmp_lt_i32_e32 vcc, 0, v6
	v_mov_b32_e32 v5, 0
	s_branch .LBB2_47
.LBB2_45:                               ;   in Loop: Header=BB2_47 Depth=3
	s_or_b64 exec, exec, s[28:29]
.LBB2_46:                               ;   in Loop: Header=BB2_47 Depth=3
	s_or_b64 exec, exec, s[26:27]
	s_add_i32 s9, s9, 1
	s_cmp_lt_i32 s9, s33
	s_cbranch_scc0 .LBB2_30
.LBB2_47:                               ;   Parent Loop BB2_15 Depth=1
                                        ;     Parent Loop BB2_31 Depth=2
                                        ; =>    This Loop Header: Depth=3
                                        ;         Child Loop BB2_50 Depth 4
                                        ;           Child Loop BB2_52 Depth 5
	s_and_saveexec_b64 s[26:27], s[2:3]
	s_cbranch_execz .LBB2_46
; %bb.48:                               ;   in Loop: Header=BB2_47 Depth=3
	s_add_i32 s4, s9, s19
	s_ashr_i32 s5, s4, 31
	s_mul_i32 s5, s14, s5
	s_mul_hi_u32 s28, s14, s4
	s_add_i32 s5, s28, s5
	s_mul_i32 s28, s15, s4
	s_add_i32 s5, s5, s28
	s_mul_i32 s4, s14, s4
	s_lshl_b64 s[4:5], s[4:5], 1
	s_add_u32 s51, s44, s4
	s_addc_u32 s52, s45, s5
	s_mov_b32 s53, 0
	s_mov_b64 s[28:29], 0
	s_branch .LBB2_50
.LBB2_49:                               ;   in Loop: Header=BB2_50 Depth=4
	s_or_b64 exec, exec, s[30:31]
	s_add_i32 s53, s53, 1
	v_cmp_ge_i32_e64 s[4:5], s53, v13
	s_or_b64 s[28:29], s[4:5], s[28:29]
	s_andn2_b64 exec, exec, s[28:29]
	s_cbranch_execz .LBB2_45
.LBB2_50:                               ;   Parent Loop BB2_15 Depth=1
                                        ;     Parent Loop BB2_31 Depth=2
                                        ;       Parent Loop BB2_47 Depth=3
                                        ; =>      This Loop Header: Depth=4
                                        ;           Child Loop BB2_52 Depth 5
	s_and_saveexec_b64 s[30:31], vcc
	s_cbranch_execz .LBB2_49
; %bb.51:                               ;   in Loop: Header=BB2_50 Depth=4
	v_add_u32_e32 v7, s53, v3
	v_ashrrev_i32_e32 v9, 31, v7
	v_mul_lo_u32 v17, s21, v7
	v_mad_u64_u32 v[7:8], s[4:5], s20, v7, 0
	v_mul_lo_u32 v9, s20, v9
	s_mov_b32 s54, 0
	s_mov_b64 s[34:35], 0
	v_add3_u32 v8, v8, v9, v17
	v_lshlrev_b64 v[7:8], 1, v[7:8]
	v_mov_b32_e32 v9, s52
	v_add_co_u32_e64 v7, s[4:5], s51, v7
	v_addc_co_u32_e64 v8, s[4:5], v9, v8, s[4:5]
.LBB2_52:                               ;   Parent Loop BB2_15 Depth=1
                                        ;     Parent Loop BB2_31 Depth=2
                                        ;       Parent Loop BB2_47 Depth=3
                                        ;         Parent Loop BB2_50 Depth=4
                                        ; =>        This Inner Loop Header: Depth=5
	v_add_u32_e32 v9, s54, v4
	v_ashrrev_i32_e32 v19, 31, v9
	v_mul_lo_u32 v20, s23, v9
	v_mad_u64_u32 v[17:18], s[4:5], s22, v9, 0
	v_mul_lo_u32 v9, s22, v19
	s_add_i32 s54, s54, 1
	v_add3_u32 v18, v18, v9, v20
	v_lshlrev_b64 v[17:18], 1, v[17:18]
	v_add_co_u32_e64 v17, s[4:5], v7, v17
	v_addc_co_u32_e64 v18, s[4:5], v8, v18, s[4:5]
	global_load_ushort v9, v[17:18], off
	v_cmp_ge_i32_e64 s[4:5], s54, v6
	s_or_b64 s[34:35], s[4:5], s[34:35]
	s_waitcnt vmcnt(0)
	v_cvt_f32_f16_e32 v9, v9
	v_add_f32_e32 v5, v5, v9
	s_andn2_b64 exec, exec, s[34:35]
	s_cbranch_execnz .LBB2_52
; %bb.53:                               ;   in Loop: Header=BB2_50 Depth=4
	s_or_b64 exec, exec, s[34:35]
	s_branch .LBB2_49
.LBB2_54:
	s_endpgm
.LBB2_55:
                                        ; implicit-def: $sgpr0_sgpr1
	s_branch .LBB2_2
.LBB2_56:
                                        ; implicit-def: $sgpr28_sgpr29
	s_branch .LBB2_5
.LBB2_57:
                                        ; implicit-def: $sgpr30_sgpr31
	s_load_dword s31, s[4:5], 0x6c
	s_andn2_b64 vcc, exec, s[10:11]
	s_cbranch_vccz .LBB2_8
	s_branch .LBB2_9
.LBB2_58:
                                        ; implicit-def: $sgpr34_sgpr35
	s_load_dword s49, s[4:5], 0x64
	s_branch .LBB2_12
	.section	.rodata,"a",@progbits
	.p2align	6, 0x0
	.amdhsa_kernel _ZN2at6native12_GLOBAL__N_119adaptiveaveragepoolIN3c104HalfEfEEvPKT_PS5_iiiiiilllllll
		.amdhsa_group_segment_fixed_size 0
		.amdhsa_private_segment_fixed_size 0
		.amdhsa_kernarg_size 352
		.amdhsa_user_sgpr_count 6
		.amdhsa_user_sgpr_private_segment_buffer 1
		.amdhsa_user_sgpr_dispatch_ptr 0
		.amdhsa_user_sgpr_queue_ptr 0
		.amdhsa_user_sgpr_kernarg_segment_ptr 1
		.amdhsa_user_sgpr_dispatch_id 0
		.amdhsa_user_sgpr_flat_scratch_init 0
		.amdhsa_user_sgpr_private_segment_size 0
		.amdhsa_uses_dynamic_stack 0
		.amdhsa_system_sgpr_private_segment_wavefront_offset 0
		.amdhsa_system_sgpr_workgroup_id_x 1
		.amdhsa_system_sgpr_workgroup_id_y 1
		.amdhsa_system_sgpr_workgroup_id_z 0
		.amdhsa_system_sgpr_workgroup_info 0
		.amdhsa_system_vgpr_workitem_id 1
		.amdhsa_next_free_vgpr 22
		.amdhsa_next_free_sgpr 55
		.amdhsa_reserve_vcc 1
		.amdhsa_reserve_flat_scratch 0
		.amdhsa_float_round_mode_32 0
		.amdhsa_float_round_mode_16_64 0
		.amdhsa_float_denorm_mode_32 3
		.amdhsa_float_denorm_mode_16_64 3
		.amdhsa_dx10_clamp 1
		.amdhsa_ieee_mode 1
		.amdhsa_fp16_overflow 0
		.amdhsa_exception_fp_ieee_invalid_op 0
		.amdhsa_exception_fp_denorm_src 0
		.amdhsa_exception_fp_ieee_div_zero 0
		.amdhsa_exception_fp_ieee_overflow 0
		.amdhsa_exception_fp_ieee_underflow 0
		.amdhsa_exception_fp_ieee_inexact 0
		.amdhsa_exception_int_div_zero 0
	.end_amdhsa_kernel
	.section	.text._ZN2at6native12_GLOBAL__N_119adaptiveaveragepoolIN3c104HalfEfEEvPKT_PS5_iiiiiilllllll,"axG",@progbits,_ZN2at6native12_GLOBAL__N_119adaptiveaveragepoolIN3c104HalfEfEEvPKT_PS5_iiiiiilllllll,comdat
.Lfunc_end2:
	.size	_ZN2at6native12_GLOBAL__N_119adaptiveaveragepoolIN3c104HalfEfEEvPKT_PS5_iiiiiilllllll, .Lfunc_end2-_ZN2at6native12_GLOBAL__N_119adaptiveaveragepoolIN3c104HalfEfEEvPKT_PS5_iiiiiilllllll
                                        ; -- End function
	.set _ZN2at6native12_GLOBAL__N_119adaptiveaveragepoolIN3c104HalfEfEEvPKT_PS5_iiiiiilllllll.num_vgpr, 22
	.set _ZN2at6native12_GLOBAL__N_119adaptiveaveragepoolIN3c104HalfEfEEvPKT_PS5_iiiiiilllllll.num_agpr, 0
	.set _ZN2at6native12_GLOBAL__N_119adaptiveaveragepoolIN3c104HalfEfEEvPKT_PS5_iiiiiilllllll.numbered_sgpr, 55
	.set _ZN2at6native12_GLOBAL__N_119adaptiveaveragepoolIN3c104HalfEfEEvPKT_PS5_iiiiiilllllll.num_named_barrier, 0
	.set _ZN2at6native12_GLOBAL__N_119adaptiveaveragepoolIN3c104HalfEfEEvPKT_PS5_iiiiiilllllll.private_seg_size, 0
	.set _ZN2at6native12_GLOBAL__N_119adaptiveaveragepoolIN3c104HalfEfEEvPKT_PS5_iiiiiilllllll.uses_vcc, 1
	.set _ZN2at6native12_GLOBAL__N_119adaptiveaveragepoolIN3c104HalfEfEEvPKT_PS5_iiiiiilllllll.uses_flat_scratch, 0
	.set _ZN2at6native12_GLOBAL__N_119adaptiveaveragepoolIN3c104HalfEfEEvPKT_PS5_iiiiiilllllll.has_dyn_sized_stack, 0
	.set _ZN2at6native12_GLOBAL__N_119adaptiveaveragepoolIN3c104HalfEfEEvPKT_PS5_iiiiiilllllll.has_recursion, 0
	.set _ZN2at6native12_GLOBAL__N_119adaptiveaveragepoolIN3c104HalfEfEEvPKT_PS5_iiiiiilllllll.has_indirect_call, 0
	.section	.AMDGPU.csdata,"",@progbits
; Kernel info:
; codeLenInByte = 7724
; TotalNumSgprs: 59
; NumVgprs: 22
; ScratchSize: 0
; MemoryBound: 0
; FloatMode: 240
; IeeeMode: 1
; LDSByteSize: 0 bytes/workgroup (compile time only)
; SGPRBlocks: 7
; VGPRBlocks: 5
; NumSGPRsForWavesPerEU: 59
; NumVGPRsForWavesPerEU: 22
; Occupancy: 10
; WaveLimiterHint : 0
; COMPUTE_PGM_RSRC2:SCRATCH_EN: 0
; COMPUTE_PGM_RSRC2:USER_SGPR: 6
; COMPUTE_PGM_RSRC2:TRAP_HANDLER: 0
; COMPUTE_PGM_RSRC2:TGID_X_EN: 1
; COMPUTE_PGM_RSRC2:TGID_Y_EN: 1
; COMPUTE_PGM_RSRC2:TGID_Z_EN: 0
; COMPUTE_PGM_RSRC2:TIDIG_COMP_CNT: 1
	.section	.text._ZN2at6native12_GLOBAL__N_119adaptiveaveragepoolIN3c108BFloat16EfEEvPKT_PS5_iiiiiilllllll,"axG",@progbits,_ZN2at6native12_GLOBAL__N_119adaptiveaveragepoolIN3c108BFloat16EfEEvPKT_PS5_iiiiiilllllll,comdat
	.globl	_ZN2at6native12_GLOBAL__N_119adaptiveaveragepoolIN3c108BFloat16EfEEvPKT_PS5_iiiiiilllllll ; -- Begin function _ZN2at6native12_GLOBAL__N_119adaptiveaveragepoolIN3c108BFloat16EfEEvPKT_PS5_iiiiiilllllll
	.p2align	8
	.type	_ZN2at6native12_GLOBAL__N_119adaptiveaveragepoolIN3c108BFloat16EfEEvPKT_PS5_iiiiiilllllll,@function
_ZN2at6native12_GLOBAL__N_119adaptiveaveragepoolIN3c108BFloat16EfEEvPKT_PS5_iiiiiilllllll: ; @_ZN2at6native12_GLOBAL__N_119adaptiveaveragepoolIN3c108BFloat16EfEEvPKT_PS5_iiiiiilllllll
; %bb.0:
	s_load_dwordx2 s[0:1], s[4:5], 0x58
	s_load_dwordx4 s[16:19], s[4:5], 0x10
	s_load_dwordx2 s[24:25], s[4:5], 0x20
	s_mov_b32 s8, 0
	s_waitcnt lgkmcnt(0)
	s_add_u32 s26, s0, s6
	s_addc_u32 s27, s1, 0
	s_ashr_i32 s3, s19, 31
	s_mov_b32 s2, s19
	s_or_b64 s[0:1], s[26:27], s[2:3]
	s_mov_b32 s9, s1
	s_cmp_lg_u64 s[8:9], 0
	s_cbranch_scc0 .LBB3_55
; %bb.1:
	s_ashr_i32 s0, s3, 31
	s_add_u32 s8, s2, s0
	s_mov_b32 s1, s0
	s_addc_u32 s9, s3, s0
	s_xor_b64 s[10:11], s[8:9], s[0:1]
	v_cvt_f32_u32_e32 v2, s10
	v_cvt_f32_u32_e32 v3, s11
	s_sub_u32 s6, 0, s10
	s_subb_u32 s14, 0, s11
	v_madmk_f32 v2, v3, 0x4f800000, v2
	v_rcp_f32_e32 v2, v2
	v_mul_f32_e32 v2, 0x5f7ffffc, v2
	v_mul_f32_e32 v3, 0x2f800000, v2
	v_trunc_f32_e32 v3, v3
	v_madmk_f32 v2, v3, 0xcf800000, v2
	v_cvt_u32_f32_e32 v3, v3
	v_cvt_u32_f32_e32 v2, v2
	v_readfirstlane_b32 s15, v3
	v_readfirstlane_b32 s12, v2
	s_mul_i32 s13, s6, s15
	s_mul_hi_u32 s20, s6, s12
	s_mul_i32 s19, s14, s12
	s_add_i32 s13, s20, s13
	s_add_i32 s13, s13, s19
	s_mul_i32 s21, s6, s12
	s_mul_i32 s20, s12, s13
	s_mul_hi_u32 s22, s12, s21
	s_mul_hi_u32 s19, s12, s13
	s_add_u32 s20, s22, s20
	s_addc_u32 s19, 0, s19
	s_mul_hi_u32 s23, s15, s21
	s_mul_i32 s21, s15, s21
	s_add_u32 s20, s20, s21
	s_mul_hi_u32 s22, s15, s13
	s_addc_u32 s19, s19, s23
	s_addc_u32 s20, s22, 0
	s_mul_i32 s13, s15, s13
	s_add_u32 s13, s19, s13
	s_addc_u32 s19, 0, s20
	s_add_u32 s20, s12, s13
	s_cselect_b64 s[12:13], -1, 0
	s_cmp_lg_u64 s[12:13], 0
	s_addc_u32 s15, s15, s19
	s_mul_i32 s12, s6, s15
	s_mul_hi_u32 s13, s6, s20
	s_add_i32 s12, s13, s12
	s_mul_i32 s14, s14, s20
	s_add_i32 s12, s12, s14
	s_mul_i32 s6, s6, s20
	s_mul_hi_u32 s14, s15, s6
	s_mul_i32 s19, s15, s6
	s_mul_i32 s22, s20, s12
	s_mul_hi_u32 s6, s20, s6
	s_mul_hi_u32 s21, s20, s12
	s_add_u32 s6, s6, s22
	s_addc_u32 s21, 0, s21
	s_add_u32 s6, s6, s19
	s_mul_hi_u32 s13, s15, s12
	s_addc_u32 s6, s21, s14
	s_addc_u32 s13, s13, 0
	s_mul_i32 s12, s15, s12
	s_add_u32 s6, s6, s12
	s_addc_u32 s14, 0, s13
	s_add_u32 s6, s20, s6
	s_cselect_b64 s[12:13], -1, 0
	s_cmp_lg_u64 s[12:13], 0
	s_addc_u32 s19, s15, s14
	s_ashr_i32 s12, s27, 31
	s_add_u32 s14, s26, s12
	s_mov_b32 s13, s12
	s_addc_u32 s15, s27, s12
	s_xor_b64 s[14:15], s[14:15], s[12:13]
	s_mul_i32 s21, s14, s19
	s_mul_hi_u32 s22, s14, s6
	s_mul_hi_u32 s20, s14, s19
	s_add_u32 s21, s22, s21
	s_addc_u32 s20, 0, s20
	s_mul_hi_u32 s23, s15, s6
	s_mul_i32 s6, s15, s6
	s_add_u32 s6, s21, s6
	s_mul_hi_u32 s22, s15, s19
	s_addc_u32 s6, s20, s23
	s_addc_u32 s20, s22, 0
	s_mul_i32 s19, s15, s19
	s_add_u32 s6, s6, s19
	s_addc_u32 s19, 0, s20
	s_mul_i32 s20, s10, s19
	s_mul_hi_u32 s21, s10, s6
	s_add_i32 s20, s21, s20
	s_mul_i32 s21, s11, s6
	s_add_i32 s28, s20, s21
	s_sub_i32 s22, s15, s28
	s_mul_i32 s20, s10, s6
	s_sub_u32 s14, s14, s20
	s_cselect_b64 s[20:21], -1, 0
	s_cmp_lg_u64 s[20:21], 0
	s_subb_u32 s29, s22, s11
	s_sub_u32 s30, s14, s10
	s_cselect_b64 s[22:23], -1, 0
	s_cmp_lg_u64 s[22:23], 0
	s_subb_u32 s22, s29, 0
	s_cmp_ge_u32 s22, s11
	s_cselect_b32 s23, -1, 0
	s_cmp_ge_u32 s30, s10
	s_cselect_b32 s29, -1, 0
	s_cmp_eq_u32 s22, s11
	s_cselect_b32 s22, s29, s23
	s_add_u32 s23, s6, 1
	s_addc_u32 s29, s19, 0
	s_add_u32 s30, s6, 2
	s_addc_u32 s31, s19, 0
	s_cmp_lg_u32 s22, 0
	s_cselect_b32 s22, s30, s23
	s_cselect_b32 s23, s31, s29
	s_cmp_lg_u64 s[20:21], 0
	s_subb_u32 s15, s15, s28
	s_cmp_ge_u32 s15, s11
	s_cselect_b32 s20, -1, 0
	s_cmp_ge_u32 s14, s10
	s_cselect_b32 s10, -1, 0
	s_cmp_eq_u32 s15, s11
	s_cselect_b32 s10, s10, s20
	s_cmp_lg_u32 s10, 0
	s_cselect_b32 s11, s23, s19
	s_cselect_b32 s10, s22, s6
	s_xor_b64 s[0:1], s[12:13], s[0:1]
	s_xor_b64 s[10:11], s[10:11], s[0:1]
	s_sub_u32 s0, s10, s0
	s_subb_u32 s1, s11, s1
	s_cbranch_execnz .LBB3_3
.LBB3_2:
	v_cvt_f32_u32_e32 v2, s2
	s_sub_i32 s0, 0, s2
	s_mov_b32 s1, 0
	v_rcp_iflag_f32_e32 v2, v2
	v_mul_f32_e32 v2, 0x4f7ffffe, v2
	v_cvt_u32_f32_e32 v2, v2
	v_readfirstlane_b32 s6, v2
	s_mul_i32 s0, s0, s6
	s_mul_hi_u32 s0, s6, s0
	s_add_i32 s6, s6, s0
	s_mul_hi_u32 s0, s26, s6
	s_mul_i32 s8, s0, s2
	s_sub_i32 s8, s26, s8
	s_add_i32 s6, s0, 1
	s_sub_i32 s9, s8, s2
	s_cmp_ge_u32 s8, s2
	s_cselect_b32 s0, s6, s0
	s_cselect_b32 s8, s9, s8
	s_add_i32 s6, s0, 1
	s_cmp_ge_u32 s8, s2
	s_cselect_b32 s0, s6, s0
.LBB3_3:
	s_mul_i32 s6, s0, s3
	s_mul_hi_u32 s8, s0, s2
	s_add_i32 s6, s8, s6
	s_mul_i32 s8, s1, s2
	s_add_i32 s8, s6, s8
	s_mul_i32 s6, s0, s2
	s_sub_u32 s6, s26, s6
	s_subb_u32 s20, s27, s8
	s_abs_i32 s8, s2
	v_cvt_f32_u32_e32 v2, s8
	s_sub_i32 s12, 0, s8
	s_abs_i32 s11, s6
	s_xor_b32 s9, s6, s2
	v_rcp_iflag_f32_e32 v2, v2
	s_ashr_i32 s21, s16, 31
	s_ashr_i32 s9, s9, 31
	s_mov_b32 s10, 0
	v_mul_f32_e32 v2, 0x4f7ffffe, v2
	v_cvt_u32_f32_e32 v2, v2
	v_readfirstlane_b32 s13, v2
	s_mul_i32 s12, s12, s13
	s_mul_hi_u32 s12, s13, s12
	s_add_i32 s13, s13, s12
	s_mul_hi_u32 s12, s11, s13
	s_mul_i32 s13, s12, s8
	s_sub_i32 s11, s11, s13
	s_add_i32 s13, s12, 1
	s_sub_i32 s14, s11, s8
	s_cmp_ge_u32 s11, s8
	s_cselect_b32 s12, s13, s12
	s_cselect_b32 s11, s14, s11
	s_add_i32 s13, s12, 1
	s_cmp_ge_u32 s11, s8
	s_cselect_b32 s8, s13, s12
	s_xor_b32 s8, s8, s9
	s_sub_i32 s19, s8, s9
	s_mul_i32 s8, s19, s2
	s_sub_i32 s8, s6, s8
	s_mul_hi_i32 s9, s8, s16
	s_mul_i32 s8, s8, s16
	s_or_b64 s[12:13], s[8:9], s[2:3]
	s_mov_b32 s11, s13
	s_cmp_lg_u64 s[10:11], 0
	s_cbranch_scc0 .LBB3_56
; %bb.4:
	s_ashr_i32 s10, s3, 31
	s_add_u32 s12, s2, s10
	s_mov_b32 s11, s10
	s_addc_u32 s13, s3, s10
	s_xor_b64 s[14:15], s[12:13], s[10:11]
	v_cvt_f32_u32_e32 v2, s14
	v_cvt_f32_u32_e32 v3, s15
	s_sub_u32 s28, 0, s14
	s_subb_u32 s29, 0, s15
	v_madmk_f32 v2, v3, 0x4f800000, v2
	v_rcp_f32_e32 v2, v2
	v_mul_f32_e32 v2, 0x5f7ffffc, v2
	v_mul_f32_e32 v3, 0x2f800000, v2
	v_trunc_f32_e32 v3, v3
	v_madmk_f32 v2, v3, 0xcf800000, v2
	v_cvt_u32_f32_e32 v3, v3
	v_cvt_u32_f32_e32 v2, v2
	v_readfirstlane_b32 s30, v3
	v_readfirstlane_b32 s22, v2
	s_mul_i32 s23, s28, s30
	s_mul_hi_u32 s33, s28, s22
	s_mul_i32 s31, s29, s22
	s_add_i32 s23, s33, s23
	s_add_i32 s23, s23, s31
	s_mul_i32 s34, s28, s22
	s_mul_i32 s33, s22, s23
	s_mul_hi_u32 s35, s22, s34
	s_mul_hi_u32 s31, s22, s23
	s_add_u32 s33, s35, s33
	s_addc_u32 s31, 0, s31
	s_mul_hi_u32 s36, s30, s34
	s_mul_i32 s34, s30, s34
	s_add_u32 s33, s33, s34
	s_mul_hi_u32 s35, s30, s23
	s_addc_u32 s31, s31, s36
	s_addc_u32 s33, s35, 0
	s_mul_i32 s23, s30, s23
	s_add_u32 s23, s31, s23
	s_addc_u32 s31, 0, s33
	s_add_u32 s33, s22, s23
	s_cselect_b64 s[22:23], -1, 0
	s_cmp_lg_u64 s[22:23], 0
	s_addc_u32 s30, s30, s31
	s_mul_i32 s22, s28, s30
	s_mul_hi_u32 s23, s28, s33
	s_add_i32 s22, s23, s22
	s_mul_i32 s29, s29, s33
	s_add_i32 s22, s22, s29
	s_mul_i32 s28, s28, s33
	s_mul_hi_u32 s29, s30, s28
	s_mul_i32 s31, s30, s28
	s_mul_i32 s35, s33, s22
	s_mul_hi_u32 s28, s33, s28
	s_mul_hi_u32 s34, s33, s22
	s_add_u32 s28, s28, s35
	s_addc_u32 s34, 0, s34
	s_add_u32 s28, s28, s31
	s_mul_hi_u32 s23, s30, s22
	s_addc_u32 s28, s34, s29
	s_addc_u32 s23, s23, 0
	s_mul_i32 s22, s30, s22
	s_add_u32 s22, s28, s22
	s_addc_u32 s28, 0, s23
	s_add_u32 s31, s33, s22
	s_cselect_b64 s[22:23], -1, 0
	s_cmp_lg_u64 s[22:23], 0
	s_addc_u32 s30, s30, s28
	s_ashr_i32 s22, s9, 31
	s_add_u32 s28, s8, s22
	s_mov_b32 s23, s22
	s_addc_u32 s29, s9, s22
	s_xor_b64 s[28:29], s[28:29], s[22:23]
	s_mul_i32 s33, s28, s30
	s_mul_hi_u32 s34, s28, s31
	s_mul_hi_u32 s9, s28, s30
	s_add_u32 s33, s34, s33
	s_addc_u32 s9, 0, s9
	s_mul_hi_u32 s35, s29, s31
	s_mul_i32 s31, s29, s31
	s_add_u32 s31, s33, s31
	s_mul_hi_u32 s34, s29, s30
	s_addc_u32 s9, s9, s35
	s_addc_u32 s31, s34, 0
	s_mul_i32 s30, s29, s30
	s_add_u32 s9, s9, s30
	s_addc_u32 s33, 0, s31
	s_mul_i32 s30, s14, s33
	s_mul_hi_u32 s31, s14, s9
	s_add_i32 s30, s31, s30
	s_mul_i32 s31, s15, s9
	s_add_i32 s36, s30, s31
	s_sub_i32 s34, s29, s36
	s_mul_i32 s30, s14, s9
	s_sub_u32 s28, s28, s30
	s_cselect_b64 s[30:31], -1, 0
	s_cmp_lg_u64 s[30:31], 0
	s_subb_u32 s37, s34, s15
	s_sub_u32 s38, s28, s14
	s_cselect_b64 s[34:35], -1, 0
	s_cmp_lg_u64 s[34:35], 0
	s_subb_u32 s34, s37, 0
	s_cmp_ge_u32 s34, s15
	s_cselect_b32 s35, -1, 0
	s_cmp_ge_u32 s38, s14
	s_cselect_b32 s37, -1, 0
	s_cmp_eq_u32 s34, s15
	s_cselect_b32 s34, s37, s35
	s_add_u32 s35, s9, 1
	s_addc_u32 s37, s33, 0
	s_add_u32 s38, s9, 2
	s_addc_u32 s39, s33, 0
	s_cmp_lg_u32 s34, 0
	s_cselect_b32 s34, s38, s35
	s_cselect_b32 s35, s39, s37
	s_cmp_lg_u64 s[30:31], 0
	s_subb_u32 s29, s29, s36
	s_cmp_ge_u32 s29, s15
	s_cselect_b32 s30, -1, 0
	s_cmp_ge_u32 s28, s14
	s_cselect_b32 s14, -1, 0
	s_cmp_eq_u32 s29, s15
	s_cselect_b32 s14, s14, s30
	s_cmp_lg_u32 s14, 0
	s_cselect_b32 s15, s35, s33
	s_cselect_b32 s14, s34, s9
	s_xor_b64 s[10:11], s[22:23], s[10:11]
	s_xor_b64 s[14:15], s[14:15], s[10:11]
	s_sub_u32 s28, s14, s10
	s_cbranch_execnz .LBB3_6
.LBB3_5:
	v_cvt_f32_u32_e32 v2, s2
	s_sub_i32 s9, 0, s2
	v_rcp_iflag_f32_e32 v2, v2
	v_mul_f32_e32 v2, 0x4f7ffffe, v2
	v_cvt_u32_f32_e32 v2, v2
	v_readfirstlane_b32 s10, v2
	s_mul_i32 s9, s9, s10
	s_mul_hi_u32 s9, s10, s9
	s_add_i32 s10, s10, s9
	s_mul_hi_u32 s9, s8, s10
	s_mul_i32 s11, s9, s2
	s_sub_i32 s8, s8, s11
	s_add_i32 s10, s9, 1
	s_sub_i32 s11, s8, s2
	s_cmp_ge_u32 s8, s2
	s_cselect_b32 s9, s10, s9
	s_cselect_b32 s8, s11, s8
	s_add_i32 s10, s9, 1
	s_cmp_ge_u32 s8, s2
	s_cselect_b32 s28, s10, s9
.LBB3_6:
	s_add_u32 s6, s6, 1
	s_addc_u32 s8, s20, 0
	s_mul_i32 s9, s6, s21
	s_mul_hi_u32 s10, s6, s16
	s_add_i32 s9, s10, s9
	s_mul_i32 s8, s8, s16
	s_add_i32 s9, s9, s8
	s_mul_i32 s6, s6, s16
	s_add_u32 s8, s6, -1
	s_addc_u32 s9, s9, -1
	s_or_b64 s[10:11], s[8:9], s[2:3]
	s_mov_b32 s10, 0
	s_cmp_lg_u64 s[10:11], 0
	s_mov_b64 s[10:11], -1
	s_cbranch_scc0 .LBB3_57
; %bb.7:
	s_ashr_i32 s12, s3, 31
	s_add_u32 s10, s2, s12
	s_mov_b32 s13, s12
	s_addc_u32 s11, s3, s12
	s_xor_b64 s[14:15], s[10:11], s[12:13]
	v_cvt_f32_u32_e32 v2, s14
	v_cvt_f32_u32_e32 v3, s15
	s_sub_u32 s3, 0, s14
	s_subb_u32 s6, 0, s15
	v_madmk_f32 v2, v3, 0x4f800000, v2
	v_rcp_f32_e32 v2, v2
	v_mul_f32_e32 v2, 0x5f7ffffc, v2
	v_mul_f32_e32 v3, 0x2f800000, v2
	v_trunc_f32_e32 v3, v3
	v_madmk_f32 v2, v3, 0xcf800000, v2
	v_cvt_u32_f32_e32 v3, v3
	v_cvt_u32_f32_e32 v2, v2
	v_readfirstlane_b32 s22, v3
	v_readfirstlane_b32 s20, v2
	s_mul_i32 s21, s3, s22
	s_mul_hi_u32 s29, s3, s20
	s_mul_i32 s23, s6, s20
	s_add_i32 s21, s29, s21
	s_add_i32 s21, s21, s23
	s_mul_i32 s30, s3, s20
	s_mul_i32 s29, s20, s21
	s_mul_hi_u32 s31, s20, s30
	s_mul_hi_u32 s23, s20, s21
	s_add_u32 s29, s31, s29
	s_addc_u32 s23, 0, s23
	s_mul_hi_u32 s33, s22, s30
	s_mul_i32 s30, s22, s30
	s_add_u32 s29, s29, s30
	s_mul_hi_u32 s31, s22, s21
	s_addc_u32 s23, s23, s33
	s_addc_u32 s29, s31, 0
	s_mul_i32 s21, s22, s21
	s_add_u32 s21, s23, s21
	s_addc_u32 s23, 0, s29
	s_add_u32 s29, s20, s21
	s_cselect_b64 s[20:21], -1, 0
	s_cmp_lg_u64 s[20:21], 0
	s_addc_u32 s22, s22, s23
	s_mul_i32 s20, s3, s22
	s_mul_hi_u32 s21, s3, s29
	s_add_i32 s20, s21, s20
	s_mul_i32 s6, s6, s29
	s_add_i32 s20, s20, s6
	s_mul_i32 s3, s3, s29
	s_mul_hi_u32 s21, s22, s3
	s_mul_i32 s23, s22, s3
	s_mul_i32 s31, s29, s20
	s_mul_hi_u32 s3, s29, s3
	s_mul_hi_u32 s30, s29, s20
	s_add_u32 s3, s3, s31
	s_addc_u32 s30, 0, s30
	s_add_u32 s3, s3, s23
	s_mul_hi_u32 s6, s22, s20
	s_addc_u32 s3, s30, s21
	s_addc_u32 s6, s6, 0
	s_mul_i32 s20, s22, s20
	s_add_u32 s3, s3, s20
	s_addc_u32 s6, 0, s6
	s_add_u32 s3, s29, s3
	s_cselect_b64 s[20:21], -1, 0
	s_cmp_lg_u64 s[20:21], 0
	s_addc_u32 s6, s22, s6
	s_ashr_i32 s20, s9, 31
	s_add_u32 s22, s8, s20
	s_mov_b32 s21, s20
	s_addc_u32 s23, s9, s20
	s_xor_b64 s[22:23], s[22:23], s[20:21]
	s_mul_i32 s29, s22, s6
	s_mul_hi_u32 s30, s22, s3
	s_mul_hi_u32 s9, s22, s6
	s_add_u32 s29, s30, s29
	s_addc_u32 s9, 0, s9
	s_mul_hi_u32 s31, s23, s3
	s_mul_i32 s3, s23, s3
	s_add_u32 s3, s29, s3
	s_mul_hi_u32 s30, s23, s6
	s_addc_u32 s3, s9, s31
	s_addc_u32 s9, s30, 0
	s_mul_i32 s6, s23, s6
	s_add_u32 s3, s3, s6
	s_addc_u32 s6, 0, s9
	s_mul_i32 s9, s14, s6
	s_mul_hi_u32 s29, s14, s3
	s_add_i32 s9, s29, s9
	s_mul_i32 s29, s15, s3
	s_add_i32 s9, s9, s29
	s_sub_i32 s29, s23, s9
	s_mul_i32 s30, s14, s3
	s_sub_u32 s22, s22, s30
	s_cselect_b64 s[30:31], -1, 0
	s_cmp_lg_u64 s[30:31], 0
	s_subb_u32 s29, s29, s15
	s_sub_u32 s33, s22, s14
	s_cselect_b64 s[34:35], -1, 0
	s_cmp_lg_u64 s[34:35], 0
	s_subb_u32 s29, s29, 0
	s_cmp_ge_u32 s29, s15
	s_cselect_b32 s34, -1, 0
	s_cmp_ge_u32 s33, s14
	s_cselect_b32 s33, -1, 0
	s_cmp_eq_u32 s29, s15
	s_cselect_b32 s29, s33, s34
	s_add_u32 s33, s3, 1
	s_addc_u32 s34, s6, 0
	s_add_u32 s35, s3, 2
	s_addc_u32 s36, s6, 0
	s_cmp_lg_u32 s29, 0
	s_cselect_b32 s29, s35, s33
	s_cselect_b32 s33, s36, s34
	s_cmp_lg_u64 s[30:31], 0
	s_subb_u32 s9, s23, s9
	s_cmp_ge_u32 s9, s15
	s_cselect_b32 s23, -1, 0
	s_cmp_ge_u32 s22, s14
	s_cselect_b32 s14, -1, 0
	s_cmp_eq_u32 s9, s15
	s_cselect_b32 s9, s14, s23
	s_cmp_lg_u32 s9, 0
	s_cselect_b32 s15, s33, s6
	s_cselect_b32 s14, s29, s3
	s_xor_b64 s[12:13], s[20:21], s[12:13]
	s_xor_b64 s[14:15], s[14:15], s[12:13]
	s_sub_u32 s30, s14, s12
	s_load_dword s31, s[4:5], 0x6c
	s_cbranch_execnz .LBB3_9
.LBB3_8:
	v_cvt_f32_u32_e32 v2, s2
	s_sub_i32 s3, 0, s2
	v_rcp_iflag_f32_e32 v2, v2
	v_mul_f32_e32 v2, 0x4f7ffffe, v2
	v_cvt_u32_f32_e32 v2, v2
	v_readfirstlane_b32 s6, v2
	s_mul_i32 s3, s3, s6
	s_mul_hi_u32 s3, s6, s3
	s_add_i32 s6, s6, s3
	s_mul_hi_u32 s3, s8, s6
	s_mul_i32 s9, s3, s2
	s_sub_i32 s8, s8, s9
	s_add_i32 s6, s3, 1
	s_sub_i32 s9, s8, s2
	s_cmp_ge_u32 s8, s2
	s_cselect_b32 s3, s6, s3
	s_cselect_b32 s8, s9, s8
	s_add_i32 s6, s3, 1
	s_cmp_ge_u32 s8, s2
	s_cselect_b32 s30, s6, s3
.LBB3_9:
	s_waitcnt lgkmcnt(0)
	s_lshr_b32 s29, s31, 16
	s_mul_i32 s7, s7, s29
	v_add_u32_e32 v10, s7, v1
	v_cmp_gt_i32_e32 vcc, s24, v10
	s_and_saveexec_b64 s[2:3], vcc
	s_cbranch_execz .LBB3_54
; %bb.10:
	s_load_dwordx8 s[8:15], s[4:5], 0x28
	s_load_dwordx4 s[20:23], s[4:5], 0x48
	s_bfe_i64 s[6:7], s[0:1], 0x200000
	s_mov_b32 s2, 0
	s_waitcnt lgkmcnt(0)
	s_or_b64 s[34:35], s[6:7], s[8:9]
	s_mov_b32 s3, s35
	s_cmp_lg_u64 s[2:3], 0
	s_cbranch_scc0 .LBB3_58
; %bb.11:
	s_ashr_i32 s34, s9, 31
	s_add_u32 s2, s8, s34
	s_mov_b32 s35, s34
	s_addc_u32 s3, s9, s34
	s_xor_b64 s[36:37], s[2:3], s[34:35]
	v_cvt_f32_u32_e32 v1, s36
	v_cvt_f32_u32_e32 v2, s37
	s_sub_u32 s1, 0, s36
	s_subb_u32 s33, 0, s37
	v_madmk_f32 v1, v2, 0x4f800000, v1
	v_rcp_f32_e32 v1, v1
	v_mul_f32_e32 v1, 0x5f7ffffc, v1
	v_mul_f32_e32 v2, 0x2f800000, v1
	v_trunc_f32_e32 v2, v2
	v_madmk_f32 v1, v2, 0xcf800000, v1
	v_cvt_u32_f32_e32 v2, v2
	v_cvt_u32_f32_e32 v1, v1
	v_readfirstlane_b32 s40, v2
	v_readfirstlane_b32 s38, v1
	s_mul_i32 s39, s1, s40
	s_mul_hi_u32 s42, s1, s38
	s_mul_i32 s41, s33, s38
	s_add_i32 s39, s42, s39
	s_add_i32 s39, s39, s41
	s_mul_i32 s43, s1, s38
	s_mul_i32 s42, s38, s39
	s_mul_hi_u32 s44, s38, s43
	s_mul_hi_u32 s41, s38, s39
	s_add_u32 s42, s44, s42
	s_addc_u32 s41, 0, s41
	s_mul_hi_u32 s45, s40, s43
	s_mul_i32 s43, s40, s43
	s_add_u32 s42, s42, s43
	s_mul_hi_u32 s44, s40, s39
	s_addc_u32 s41, s41, s45
	s_addc_u32 s42, s44, 0
	s_mul_i32 s39, s40, s39
	s_add_u32 s39, s41, s39
	s_addc_u32 s41, 0, s42
	s_add_u32 s42, s38, s39
	s_cselect_b64 s[38:39], -1, 0
	s_cmp_lg_u64 s[38:39], 0
	s_addc_u32 s40, s40, s41
	s_mul_i32 s38, s1, s40
	s_mul_hi_u32 s39, s1, s42
	s_add_i32 s38, s39, s38
	s_mul_i32 s33, s33, s42
	s_add_i32 s38, s38, s33
	s_mul_i32 s1, s1, s42
	s_mul_hi_u32 s39, s40, s1
	s_mul_i32 s41, s40, s1
	s_mul_i32 s44, s42, s38
	s_mul_hi_u32 s1, s42, s1
	s_mul_hi_u32 s43, s42, s38
	s_add_u32 s1, s1, s44
	s_addc_u32 s43, 0, s43
	s_add_u32 s1, s1, s41
	s_mul_hi_u32 s33, s40, s38
	s_addc_u32 s1, s43, s39
	s_addc_u32 s33, s33, 0
	s_mul_i32 s38, s40, s38
	s_add_u32 s1, s1, s38
	s_addc_u32 s33, 0, s33
	s_add_u32 s1, s42, s1
	s_cselect_b64 s[38:39], -1, 0
	s_cmp_lg_u64 s[38:39], 0
	s_addc_u32 s33, s40, s33
	s_ashr_i32 s38, s7, 31
	s_add_u32 s40, s6, s38
	s_mov_b32 s39, s38
	s_addc_u32 s41, s7, s38
	s_xor_b64 s[40:41], s[40:41], s[38:39]
	s_mul_i32 s43, s40, s33
	s_mul_hi_u32 s44, s40, s1
	s_mul_hi_u32 s42, s40, s33
	s_add_u32 s43, s44, s43
	s_addc_u32 s42, 0, s42
	s_mul_hi_u32 s45, s41, s1
	s_mul_i32 s1, s41, s1
	s_add_u32 s1, s43, s1
	s_mul_hi_u32 s44, s41, s33
	s_addc_u32 s1, s42, s45
	s_addc_u32 s42, s44, 0
	s_mul_i32 s33, s41, s33
	s_add_u32 s1, s1, s33
	s_addc_u32 s33, 0, s42
	s_mul_i32 s42, s36, s33
	s_mul_hi_u32 s43, s36, s1
	s_add_i32 s42, s43, s42
	s_mul_i32 s43, s37, s1
	s_add_i32 s46, s42, s43
	s_sub_i32 s44, s41, s46
	s_mul_i32 s42, s36, s1
	s_sub_u32 s40, s40, s42
	s_cselect_b64 s[42:43], -1, 0
	s_cmp_lg_u64 s[42:43], 0
	s_subb_u32 s47, s44, s37
	s_sub_u32 s48, s40, s36
	s_cselect_b64 s[44:45], -1, 0
	s_cmp_lg_u64 s[44:45], 0
	s_subb_u32 s44, s47, 0
	s_cmp_ge_u32 s44, s37
	s_cselect_b32 s45, -1, 0
	s_cmp_ge_u32 s48, s36
	s_cselect_b32 s47, -1, 0
	s_cmp_eq_u32 s44, s37
	s_cselect_b32 s44, s47, s45
	s_add_u32 s45, s1, 1
	s_addc_u32 s47, s33, 0
	s_add_u32 s48, s1, 2
	s_addc_u32 s49, s33, 0
	s_cmp_lg_u32 s44, 0
	s_cselect_b32 s44, s48, s45
	s_cselect_b32 s45, s49, s47
	s_cmp_lg_u64 s[42:43], 0
	s_subb_u32 s41, s41, s46
	s_cmp_ge_u32 s41, s37
	s_cselect_b32 s42, -1, 0
	s_cmp_ge_u32 s40, s36
	s_cselect_b32 s36, -1, 0
	s_cmp_eq_u32 s41, s37
	s_cselect_b32 s36, s36, s42
	s_cmp_lg_u32 s36, 0
	s_cselect_b32 s37, s45, s33
	s_cselect_b32 s36, s44, s1
	s_xor_b64 s[34:35], s[38:39], s[34:35]
	s_xor_b64 s[36:37], s[36:37], s[34:35]
	s_sub_u32 s34, s36, s34
	s_subb_u32 s35, s37, s35
	s_load_dword s49, s[4:5], 0x64
	s_cbranch_execnz .LBB3_13
.LBB3_12:
	v_cvt_f32_u32_e32 v1, s8
	s_sub_i32 s1, 0, s8
	s_mov_b32 s35, 0
	v_rcp_iflag_f32_e32 v1, v1
	v_mul_f32_e32 v1, 0x4f7ffffe, v1
	v_cvt_u32_f32_e32 v1, v1
	v_readfirstlane_b32 s2, v1
	s_mul_i32 s1, s1, s2
	s_mul_hi_u32 s1, s2, s1
	s_add_i32 s2, s2, s1
	s_mul_hi_u32 s1, s0, s2
	s_mul_i32 s3, s1, s8
	s_sub_i32 s0, s0, s3
	s_add_i32 s2, s1, 1
	s_sub_i32 s3, s0, s8
	s_cmp_ge_u32 s0, s8
	s_cselect_b32 s1, s2, s1
	s_cselect_b32 s0, s3, s0
	s_add_i32 s2, s1, 1
	s_cmp_ge_u32 s0, s8
	s_cselect_b32 s34, s2, s1
.LBB3_13:
	s_mul_i32 s19, s19, s16
	s_load_dwordx4 s[0:3], s[4:5], 0x0
	s_mul_i32 s16, s25, s24
	s_mul_hi_i32 s4, s25, s24
	s_mul_i32 s5, s16, s27
	s_mul_hi_u32 s27, s16, s26
	s_add_i32 s19, s28, s19
	s_add_i32 s5, s27, s5
	s_mul_i32 s4, s4, s26
	s_sub_i32 s33, s30, s19
	s_add_i32 s5, s5, s4
	s_mul_i32 s4, s16, s26
	s_add_i32 s33, s33, 1
	s_ashr_i32 s36, s24, 31
	s_ashr_i32 s38, s25, 31
	s_lshl_b64 s[4:5], s[4:5], 1
	s_waitcnt lgkmcnt(0)
	s_add_u32 s39, s2, s4
	s_addc_u32 s40, s3, s5
	s_mul_i32 s2, s34, s9
	s_mul_hi_u32 s3, s34, s8
	s_add_i32 s2, s3, s2
	s_mul_i32 s3, s35, s8
	s_and_b32 s41, s31, 0xffff
	s_add_i32 s2, s2, s3
	s_mul_i32 s3, s34, s8
	s_sub_u32 s4, s6, s3
	s_subb_u32 s5, s7, s2
	s_ashr_i32 s42, s17, 31
	s_ashr_i32 s43, s18, 31
	s_cmp_gt_i32 s33, 0
	s_cselect_b64 s[6:7], -1, 0
	s_bfe_i64 s[2:3], s[34:35], 0x200000
	s_mul_i32 s2, s34, s11
	s_mul_hi_u32 s8, s34, s10
	s_add_i32 s2, s8, s2
	s_mul_i32 s3, s3, s10
	s_mul_i32 s8, s4, s13
	s_mul_hi_u32 s9, s4, s12
	s_add_i32 s3, s2, s3
	s_mul_i32 s2, s34, s10
	s_add_i32 s8, s9, s8
	s_mul_i32 s5, s5, s12
	s_add_i32 s5, s8, s5
	s_lshl_b64 s[2:3], s[2:3], 1
	s_mul_i32 s4, s4, s12
	s_add_u32 s2, s0, s2
	s_addc_u32 s3, s1, s3
	s_lshl_b64 s[0:1], s[4:5], 1
	s_add_u32 s44, s2, s0
	s_addc_u32 s45, s3, s1
	s_ashr_i32 s46, s24, 31
	s_add_i32 s0, s24, s46
	s_xor_b32 s47, s0, s46
	s_mov_b32 s37, s24
	v_cvt_f32_u32_e32 v1, s47
	v_cvt_f32_u32_e32 v2, s37
	s_sub_i32 s2, 0, s47
	s_mov_b32 s48, s25
	v_rcp_iflag_f32_e32 v1, v1
	v_rcp_iflag_f32_e32 v2, v2
	s_mul_i32 s49, s49, s29
	s_mov_b32 s50, s17
	v_mul_f32_e32 v1, 0x4f7ffffe, v1
	v_cvt_u32_f32_e32 v1, v1
	v_mul_f32_e32 v2, 0x4f7ffffe, v2
	v_cvt_u32_f32_e32 v3, v2
	v_cmp_gt_i32_e64 s[0:1], s25, v0
	v_mul_lo_u32 v2, s2, v1
	s_sub_i32 s2, 0, s24
	v_mul_lo_u32 v4, s2, v3
	s_mov_b32 s8, 0
	v_mul_hi_u32 v5, v1, v2
	s_mov_b64 s[10:11], 0
	v_mul_hi_u32 v4, v3, v4
	v_mov_b32_e32 v2, 0
	s_movk_i32 s51, 0x7fff
	v_add_u32_e32 v11, v1, v5
	v_add_u32_e32 v12, v3, v4
	v_mov_b32_e32 v13, 0x7fc0
	s_branch .LBB3_15
.LBB3_14:                               ;   in Loop: Header=BB3_15 Depth=1
	s_or_b64 exec, exec, s[12:13]
	v_add_u32_e32 v10, s49, v10
	v_cmp_le_i32_e32 vcc, s24, v10
	s_or_b64 s[10:11], vcc, s[10:11]
	s_andn2_b64 exec, exec, s[10:11]
	s_cbranch_execz .LBB3_54
.LBB3_15:                               ; =>This Loop Header: Depth=1
                                        ;     Child Loop BB3_31 Depth 2
                                        ;       Child Loop BB3_47 Depth 3
                                        ;         Child Loop BB3_50 Depth 4
                                        ;           Child Loop BB3_52 Depth 5
	v_ashrrev_i32_e32 v8, 31, v10
	v_or_b32_e32 v4, s36, v8
	v_mov_b32_e32 v3, v2
	v_cmp_ne_u64_e32 vcc, 0, v[3:4]
                                        ; implicit-def: $vgpr3_vgpr4
	s_and_saveexec_b64 s[2:3], vcc
	s_xor_b64 s[2:3], exec, s[2:3]
	s_cbranch_execz .LBB3_17
; %bb.16:                               ;   in Loop: Header=BB3_15 Depth=1
	v_ashrrev_i32_e32 v1, 31, v10
	v_add_u32_e32 v3, v10, v1
	v_xor_b32_e32 v3, v3, v1
	v_mul_hi_u32 v4, v3, v11
	v_xor_b32_e32 v1, s46, v1
	v_mul_lo_u32 v5, v4, s47
	v_add_u32_e32 v6, 1, v4
	v_sub_u32_e32 v3, v3, v5
	v_subrev_u32_e32 v5, s47, v3
	v_cmp_le_u32_e32 vcc, s47, v3
	v_cndmask_b32_e32 v3, v3, v5, vcc
	v_cndmask_b32_e32 v4, v4, v6, vcc
	v_add_u32_e32 v5, 1, v4
	v_cmp_le_u32_e32 vcc, s47, v3
	v_cndmask_b32_e32 v3, v4, v5, vcc
	v_xor_b32_e32 v3, v3, v1
	v_sub_u32_e32 v3, v3, v1
	v_ashrrev_i32_e32 v4, 31, v3
.LBB3_17:                               ;   in Loop: Header=BB3_15 Depth=1
	s_andn2_saveexec_b64 s[2:3], s[2:3]
	s_cbranch_execz .LBB3_19
; %bb.18:                               ;   in Loop: Header=BB3_15 Depth=1
	v_mul_hi_u32 v1, v10, v12
	v_mul_lo_u32 v3, v1, s37
	v_add_u32_e32 v4, 1, v1
	v_sub_u32_e32 v3, v10, v3
	v_subrev_u32_e32 v5, s37, v3
	v_cmp_le_u32_e32 vcc, s37, v3
	v_cndmask_b32_e32 v3, v3, v5, vcc
	v_cndmask_b32_e32 v1, v1, v4, vcc
	v_add_u32_e32 v4, 1, v1
	v_cmp_le_u32_e32 vcc, s37, v3
	v_cndmask_b32_e32 v1, v1, v4, vcc
	v_mov_b32_e32 v4, v2
	v_mov_b32_e32 v3, v1
.LBB3_19:                               ;   in Loop: Header=BB3_15 Depth=1
	s_or_b64 exec, exec, s[2:3]
	v_mul_lo_u32 v1, v4, s37
	v_mul_lo_u32 v6, v3, s36
	v_mad_u64_u32 v[4:5], s[2:3], v3, s37, 0
	v_add3_u32 v1, v5, v6, v1
	v_sub_co_u32_e32 v4, vcc, v10, v4
	v_subb_co_u32_e32 v1, vcc, v8, v1, vcc
	v_mul_lo_u32 v1, v1, s50
	v_mul_lo_u32 v5, v4, s42
	v_mad_u64_u32 v[6:7], s[2:3], v4, s50, 0
	v_mov_b32_e32 v4, v2
	v_add3_u32 v7, v7, v5, v1
	v_or_b32_e32 v5, s36, v7
	v_cmp_ne_u64_e32 vcc, 0, v[4:5]
                                        ; implicit-def: $vgpr4_vgpr5
	s_and_saveexec_b64 s[2:3], vcc
	s_xor_b64 s[4:5], exec, s[2:3]
	s_cbranch_execz .LBB3_21
; %bb.20:                               ;   in Loop: Header=BB3_15 Depth=1
	s_ashr_i32 s12, s36, 31
	s_add_u32 s2, s37, s12
	s_mov_b32 s13, s12
	s_addc_u32 s3, s36, s12
	s_xor_b64 s[16:17], s[2:3], s[12:13]
	v_cvt_f32_u32_e32 v1, s16
	v_cvt_f32_u32_e32 v4, s17
	s_sub_u32 s9, 0, s16
	s_subb_u32 s13, 0, s17
	v_mac_f32_e32 v1, 0x4f800000, v4
	v_rcp_f32_e32 v1, v1
	v_mul_f32_e32 v1, 0x5f7ffffc, v1
	v_mul_f32_e32 v4, 0x2f800000, v1
	v_trunc_f32_e32 v4, v4
	v_mac_f32_e32 v1, 0xcf800000, v4
	v_cvt_u32_f32_e32 v4, v4
	v_cvt_u32_f32_e32 v1, v1
	v_readfirstlane_b32 s26, v4
	v_readfirstlane_b32 s2, v1
	s_mul_i32 s3, s9, s26
	s_mul_hi_u32 s28, s9, s2
	s_mul_i32 s27, s13, s2
	s_add_i32 s3, s28, s3
	s_add_i32 s3, s3, s27
	s_mul_i32 s29, s9, s2
	s_mul_i32 s28, s2, s3
	s_mul_hi_u32 s30, s2, s29
	s_mul_hi_u32 s27, s2, s3
	s_add_u32 s28, s30, s28
	s_addc_u32 s27, 0, s27
	s_mul_hi_u32 s31, s26, s29
	s_mul_i32 s29, s26, s29
	s_add_u32 s28, s28, s29
	s_mul_hi_u32 s30, s26, s3
	s_addc_u32 s27, s27, s31
	s_addc_u32 s28, s30, 0
	s_mul_i32 s3, s26, s3
	s_add_u32 s3, s27, s3
	s_addc_u32 s27, 0, s28
	s_add_u32 s28, s2, s3
	s_cselect_b64 s[2:3], -1, 0
	s_cmp_lg_u64 s[2:3], 0
	s_addc_u32 s26, s26, s27
	s_mul_i32 s2, s9, s26
	s_mul_hi_u32 s3, s9, s28
	s_add_i32 s2, s3, s2
	s_mul_i32 s13, s13, s28
	s_add_i32 s2, s2, s13
	s_mul_i32 s9, s9, s28
	s_mul_hi_u32 s13, s26, s9
	s_mul_i32 s27, s26, s9
	s_mul_i32 s30, s28, s2
	s_mul_hi_u32 s9, s28, s9
	s_mul_hi_u32 s29, s28, s2
	s_add_u32 s9, s9, s30
	s_addc_u32 s29, 0, s29
	s_add_u32 s9, s9, s27
	s_mul_hi_u32 s3, s26, s2
	s_addc_u32 s9, s29, s13
	s_addc_u32 s3, s3, 0
	s_mul_i32 s2, s26, s2
	s_add_u32 s2, s9, s2
	s_addc_u32 s9, 0, s3
	s_add_u32 s13, s28, s2
	s_cselect_b64 s[2:3], -1, 0
	v_ashrrev_i32_e32 v1, 31, v7
	s_cmp_lg_u64 s[2:3], 0
	v_add_co_u32_e32 v4, vcc, v6, v1
	s_addc_u32 s9, s26, s9
	v_xor_b32_e32 v9, v4, v1
	v_addc_co_u32_e32 v6, vcc, v7, v1, vcc
	v_mad_u64_u32 v[4:5], s[2:3], v9, s9, 0
	v_mul_hi_u32 v7, v9, s13
	v_xor_b32_e32 v14, v6, v1
	v_xor_b32_e32 v1, s12, v1
	v_add_co_u32_e32 v15, vcc, v7, v4
	v_addc_co_u32_e32 v16, vcc, 0, v5, vcc
	v_mad_u64_u32 v[4:5], s[2:3], v14, s13, 0
	v_mad_u64_u32 v[6:7], s[2:3], v14, s9, 0
	v_add_co_u32_e32 v4, vcc, v15, v4
	v_addc_co_u32_e32 v4, vcc, v16, v5, vcc
	v_addc_co_u32_e32 v5, vcc, 0, v7, vcc
	v_add_co_u32_e32 v6, vcc, v4, v6
	v_addc_co_u32_e32 v4, vcc, 0, v5, vcc
	v_mul_lo_u32 v7, s17, v6
	v_mul_lo_u32 v15, s16, v4
	v_mad_u64_u32 v[4:5], s[2:3], s16, v6, 0
	v_add3_u32 v5, v5, v15, v7
	v_sub_u32_e32 v7, v14, v5
	v_mov_b32_e32 v15, s17
	v_sub_co_u32_e32 v4, vcc, v9, v4
	v_subb_co_u32_e64 v7, s[2:3], v7, v15, vcc
	v_subrev_co_u32_e64 v9, s[2:3], s16, v4
	v_subbrev_co_u32_e64 v7, s[2:3], 0, v7, s[2:3]
	v_cmp_le_u32_e64 s[2:3], s17, v7
	v_subb_co_u32_e32 v5, vcc, v14, v5, vcc
	v_cndmask_b32_e64 v15, 0, -1, s[2:3]
	v_cmp_le_u32_e64 s[2:3], s16, v9
	v_cmp_le_u32_e32 vcc, s17, v5
	v_cndmask_b32_e64 v9, 0, -1, s[2:3]
	v_cmp_eq_u32_e64 s[2:3], s17, v7
	v_cndmask_b32_e64 v14, 0, -1, vcc
	v_cmp_le_u32_e32 vcc, s16, v4
	v_cndmask_b32_e64 v7, v15, v9, s[2:3]
	v_cndmask_b32_e64 v4, 0, -1, vcc
	v_cmp_eq_u32_e32 vcc, s17, v5
	v_add_co_u32_e64 v9, s[2:3], 2, v6
	v_add_co_u32_e64 v15, s[2:3], 1, v6
	v_cndmask_b32_e32 v4, v14, v4, vcc
	v_cmp_ne_u32_e32 vcc, 0, v7
	v_cndmask_b32_e32 v5, v15, v9, vcc
	v_cmp_ne_u32_e32 vcc, 0, v4
	v_cndmask_b32_e32 v4, v6, v5, vcc
	v_xor_b32_e32 v4, v4, v1
	v_sub_co_u32_e32 v4, vcc, v4, v1
                                        ; implicit-def: $vgpr6_vgpr7
.LBB3_21:                               ;   in Loop: Header=BB3_15 Depth=1
	s_andn2_saveexec_b64 s[2:3], s[4:5]
	s_cbranch_execz .LBB3_23
; %bb.22:                               ;   in Loop: Header=BB3_15 Depth=1
	v_mul_hi_u32 v1, v6, v12
	v_mul_lo_u32 v4, v1, s37
	v_add_u32_e32 v5, 1, v1
	v_sub_u32_e32 v4, v6, v4
	v_subrev_u32_e32 v6, s37, v4
	v_cmp_le_u32_e32 vcc, s37, v4
	v_cndmask_b32_e32 v4, v4, v6, vcc
	v_cndmask_b32_e32 v1, v1, v5, vcc
	v_add_u32_e32 v5, 1, v1
	v_cmp_le_u32_e32 vcc, s37, v4
	v_cndmask_b32_e32 v4, v1, v5, vcc
.LBB3_23:                               ;   in Loop: Header=BB3_15 Depth=1
	s_or_b64 exec, exec, s[2:3]
	v_add_co_u32_e32 v1, vcc, 1, v10
	v_addc_co_u32_e32 v5, vcc, 0, v8, vcc
	v_mul_lo_u32 v7, v1, s42
	v_mul_lo_u32 v8, v5, s50
	v_mad_u64_u32 v[5:6], s[2:3], v1, s50, -1
	v_add3_u32 v6, v8, v6, v7
	v_or_b32_e32 v8, s36, v6
	v_mov_b32_e32 v7, v2
	v_cmp_ne_u64_e32 vcc, 0, v[7:8]
                                        ; implicit-def: $vgpr7_vgpr8
	s_and_saveexec_b64 s[2:3], vcc
	s_xor_b64 s[4:5], exec, s[2:3]
	s_cbranch_execnz .LBB3_26
; %bb.24:                               ;   in Loop: Header=BB3_15 Depth=1
	s_andn2_saveexec_b64 s[2:3], s[4:5]
	s_cbranch_execnz .LBB3_27
.LBB3_25:                               ;   in Loop: Header=BB3_15 Depth=1
	s_or_b64 exec, exec, s[2:3]
	s_and_saveexec_b64 s[12:13], s[0:1]
	s_cbranch_execz .LBB3_14
	s_branch .LBB3_28
.LBB3_26:                               ;   in Loop: Header=BB3_15 Depth=1
	s_ashr_i32 s12, s36, 31
	s_add_u32 s2, s37, s12
	s_mov_b32 s13, s12
	s_addc_u32 s3, s36, s12
	s_xor_b64 s[16:17], s[2:3], s[12:13]
	v_cvt_f32_u32_e32 v1, s16
	v_cvt_f32_u32_e32 v7, s17
	s_sub_u32 s9, 0, s16
	s_subb_u32 s13, 0, s17
	v_mac_f32_e32 v1, 0x4f800000, v7
	v_rcp_f32_e32 v1, v1
	v_mul_f32_e32 v1, 0x5f7ffffc, v1
	v_mul_f32_e32 v7, 0x2f800000, v1
	v_trunc_f32_e32 v7, v7
	v_mac_f32_e32 v1, 0xcf800000, v7
	v_cvt_u32_f32_e32 v7, v7
	v_cvt_u32_f32_e32 v1, v1
	v_readfirstlane_b32 s26, v7
	v_readfirstlane_b32 s2, v1
	s_mul_i32 s3, s9, s26
	s_mul_hi_u32 s28, s9, s2
	s_mul_i32 s27, s13, s2
	s_add_i32 s3, s28, s3
	s_add_i32 s3, s3, s27
	s_mul_i32 s29, s9, s2
	s_mul_i32 s28, s2, s3
	s_mul_hi_u32 s30, s2, s29
	s_mul_hi_u32 s27, s2, s3
	s_add_u32 s28, s30, s28
	s_addc_u32 s27, 0, s27
	s_mul_hi_u32 s31, s26, s29
	s_mul_i32 s29, s26, s29
	s_add_u32 s28, s28, s29
	s_mul_hi_u32 s30, s26, s3
	s_addc_u32 s27, s27, s31
	s_addc_u32 s28, s30, 0
	s_mul_i32 s3, s26, s3
	s_add_u32 s3, s27, s3
	s_addc_u32 s27, 0, s28
	s_add_u32 s28, s2, s3
	s_cselect_b64 s[2:3], -1, 0
	s_cmp_lg_u64 s[2:3], 0
	s_addc_u32 s26, s26, s27
	s_mul_i32 s2, s9, s26
	s_mul_hi_u32 s3, s9, s28
	s_add_i32 s2, s3, s2
	s_mul_i32 s13, s13, s28
	s_add_i32 s2, s2, s13
	s_mul_i32 s9, s9, s28
	s_mul_hi_u32 s13, s26, s9
	s_mul_i32 s27, s26, s9
	s_mul_i32 s30, s28, s2
	s_mul_hi_u32 s9, s28, s9
	s_mul_hi_u32 s29, s28, s2
	s_add_u32 s9, s9, s30
	s_addc_u32 s29, 0, s29
	s_add_u32 s9, s9, s27
	s_mul_hi_u32 s3, s26, s2
	s_addc_u32 s9, s29, s13
	s_addc_u32 s3, s3, 0
	s_mul_i32 s2, s26, s2
	s_add_u32 s2, s9, s2
	s_addc_u32 s9, 0, s3
	s_add_u32 s13, s28, s2
	s_cselect_b64 s[2:3], -1, 0
	v_ashrrev_i32_e32 v1, 31, v6
	s_cmp_lg_u64 s[2:3], 0
	v_add_co_u32_e32 v5, vcc, v5, v1
	s_addc_u32 s9, s26, s9
	v_xor_b32_e32 v9, v5, v1
	v_addc_co_u32_e32 v7, vcc, v6, v1, vcc
	v_mad_u64_u32 v[5:6], s[2:3], v9, s9, 0
	v_mul_hi_u32 v8, v9, s13
	v_xor_b32_e32 v14, v7, v1
	v_xor_b32_e32 v1, s12, v1
	v_add_co_u32_e32 v15, vcc, v8, v5
	v_addc_co_u32_e32 v16, vcc, 0, v6, vcc
	v_mad_u64_u32 v[5:6], s[2:3], v14, s13, 0
	v_mad_u64_u32 v[7:8], s[2:3], v14, s9, 0
	v_add_co_u32_e32 v5, vcc, v15, v5
	v_addc_co_u32_e32 v5, vcc, v16, v6, vcc
	v_addc_co_u32_e32 v6, vcc, 0, v8, vcc
	v_add_co_u32_e32 v7, vcc, v5, v7
	v_addc_co_u32_e32 v5, vcc, 0, v6, vcc
	v_mul_lo_u32 v8, s17, v7
	v_mul_lo_u32 v15, s16, v5
	v_mad_u64_u32 v[5:6], s[2:3], s16, v7, 0
	v_add3_u32 v6, v6, v15, v8
	v_sub_u32_e32 v8, v14, v6
	v_mov_b32_e32 v15, s17
	v_sub_co_u32_e32 v5, vcc, v9, v5
	v_subb_co_u32_e64 v8, s[2:3], v8, v15, vcc
	v_subrev_co_u32_e64 v9, s[2:3], s16, v5
	v_subbrev_co_u32_e64 v8, s[2:3], 0, v8, s[2:3]
	v_cmp_le_u32_e64 s[2:3], s17, v8
	v_subb_co_u32_e32 v6, vcc, v14, v6, vcc
	v_cndmask_b32_e64 v15, 0, -1, s[2:3]
	v_cmp_le_u32_e64 s[2:3], s16, v9
	v_cmp_le_u32_e32 vcc, s17, v6
	v_cndmask_b32_e64 v9, 0, -1, s[2:3]
	v_cmp_eq_u32_e64 s[2:3], s17, v8
	v_cndmask_b32_e64 v14, 0, -1, vcc
	v_cmp_le_u32_e32 vcc, s16, v5
	v_cndmask_b32_e64 v8, v15, v9, s[2:3]
	v_cndmask_b32_e64 v5, 0, -1, vcc
	v_cmp_eq_u32_e32 vcc, s17, v6
	v_add_co_u32_e64 v9, s[2:3], 2, v7
	v_add_co_u32_e64 v15, s[2:3], 1, v7
	v_cndmask_b32_e32 v5, v14, v5, vcc
	v_cmp_ne_u32_e32 vcc, 0, v8
	v_cndmask_b32_e32 v6, v15, v9, vcc
	v_cmp_ne_u32_e32 vcc, 0, v5
	v_cndmask_b32_e32 v5, v7, v6, vcc
	v_xor_b32_e32 v5, v5, v1
	v_sub_co_u32_e32 v7, vcc, v5, v1
                                        ; implicit-def: $vgpr5_vgpr6
	s_andn2_saveexec_b64 s[2:3], s[4:5]
	s_cbranch_execz .LBB3_25
.LBB3_27:                               ;   in Loop: Header=BB3_15 Depth=1
	v_mul_hi_u32 v1, v5, v12
	v_mul_lo_u32 v6, v1, s37
	v_add_u32_e32 v7, 1, v1
	v_sub_u32_e32 v5, v5, v6
	v_subrev_u32_e32 v6, s37, v5
	v_cmp_le_u32_e32 vcc, s37, v5
	v_cndmask_b32_e32 v5, v5, v6, vcc
	v_cndmask_b32_e32 v1, v1, v7, vcc
	v_add_u32_e32 v6, 1, v1
	v_cmp_le_u32_e32 vcc, s37, v5
	v_cndmask_b32_e32 v7, v1, v6, vcc
	s_or_b64 exec, exec, s[2:3]
	s_and_saveexec_b64 s[12:13], s[0:1]
	s_cbranch_execz .LBB3_14
.LBB3_28:                               ;   in Loop: Header=BB3_15 Depth=1
	v_mad_u64_u32 v[3:4], s[2:3], v3, s50, v[4:5]
	v_mul_lo_u32 v4, v10, s25
	s_mov_b64 s[16:17], 0
	v_sub_u32_e32 v1, v7, v3
	v_add_u32_e32 v14, 1, v1
	v_ashrrev_i32_e32 v5, 31, v4
	v_lshlrev_b64 v[4:5], 1, v[4:5]
	v_mul_lo_u32 v17, v14, s33
	v_mov_b32_e32 v1, s40
	v_add_co_u32_e32 v15, vcc, s39, v4
	v_addc_co_u32_e32 v16, vcc, v1, v5, vcc
	v_cmp_lt_i32_e64 s[2:3], 0, v14
	v_mov_b32_e32 v1, v0
	s_branch .LBB3_31
.LBB3_29:                               ;   in Loop: Header=BB3_31 Depth=2
	v_mov_b32_e32 v5, 0
.LBB3_30:                               ;   in Loop: Header=BB3_31 Depth=2
	v_mul_lo_u32 v4, v17, v6
	v_cvt_f32_i32_e32 v4, v4
	v_div_scale_f32 v6, s[4:5], v4, v4, v5
	v_div_scale_f32 v7, vcc, v5, v4, v5
	v_rcp_f32_e32 v8, v6
	v_fma_f32 v9, -v6, v8, 1.0
	v_fmac_f32_e32 v8, v9, v8
	v_mul_f32_e32 v9, v7, v8
	v_fma_f32 v18, -v6, v9, v7
	v_fmac_f32_e32 v9, v18, v8
	v_fma_f32 v6, -v6, v9, v7
	v_div_fmas_f32 v8, v6, v8, v9
	v_lshlrev_b64 v[6:7], 1, v[1:2]
	v_add_u32_e32 v1, s41, v1
	v_add_co_u32_e32 v6, vcc, v15, v6
	v_addc_co_u32_e32 v7, vcc, v16, v7, vcc
	v_cmp_le_i32_e64 s[4:5], s25, v1
	s_or_b64 s[16:17], s[4:5], s[16:17]
	v_div_fixup_f32 v4, v8, v4, v5
	v_bfe_u32 v5, v4, 16, 1
	v_cmp_o_f32_e32 vcc, v4, v4
	v_add3_u32 v4, v4, v5, s51
	v_cndmask_b32_sdwa v4, v13, v4, vcc dst_sel:DWORD dst_unused:UNUSED_PAD src0_sel:DWORD src1_sel:WORD_1
	global_store_short v[6:7], v4, off
	s_andn2_b64 exec, exec, s[16:17]
	s_cbranch_execz .LBB3_14
.LBB3_31:                               ;   Parent Loop BB3_15 Depth=1
                                        ; =>  This Loop Header: Depth=2
                                        ;       Child Loop BB3_47 Depth 3
                                        ;         Child Loop BB3_50 Depth 4
                                        ;           Child Loop BB3_52 Depth 5
	s_mov_b32 s9, s38
	s_cmp_lg_u64 s[8:9], 0
	s_cselect_b64 s[4:5], -1, 0
                                        ; implicit-def: $vgpr4_vgpr5
	s_and_saveexec_b64 s[26:27], s[4:5]
	s_xor_b64 s[26:27], exec, s[26:27]
	s_cbranch_execz .LBB3_33
; %bb.32:                               ;   in Loop: Header=BB3_31 Depth=2
	s_ashr_i32 s28, s38, 31
	s_add_u32 s4, s48, s28
	s_mov_b32 s29, s28
	s_addc_u32 s5, s38, s28
	s_xor_b64 s[30:31], s[4:5], s[28:29]
	v_cvt_f32_u32_e32 v4, s30
	v_cvt_f32_u32_e32 v5, s31
	s_sub_u32 s9, 0, s30
	s_subb_u32 s29, 0, s31
	v_add_co_u32_e32 v8, vcc, 0, v1
	v_mac_f32_e32 v4, 0x4f800000, v5
	v_rcp_f32_e32 v4, v4
	v_mul_f32_e32 v4, 0x5f7ffffc, v4
	v_mul_f32_e32 v5, 0x2f800000, v4
	v_trunc_f32_e32 v5, v5
	v_mac_f32_e32 v4, 0xcf800000, v5
	v_cvt_u32_f32_e32 v5, v5
	v_cvt_u32_f32_e32 v4, v4
	v_readfirstlane_b32 s34, v5
	v_readfirstlane_b32 s4, v4
	s_mul_i32 s5, s9, s34
	s_mul_hi_u32 s52, s9, s4
	s_mul_i32 s35, s29, s4
	s_add_i32 s5, s52, s5
	s_add_i32 s5, s5, s35
	s_mul_i32 s53, s9, s4
	s_mul_i32 s52, s4, s5
	s_mul_hi_u32 s54, s4, s53
	s_mul_hi_u32 s35, s4, s5
	s_add_u32 s52, s54, s52
	s_addc_u32 s35, 0, s35
	s_mul_hi_u32 s55, s34, s53
	s_mul_i32 s53, s34, s53
	s_add_u32 s52, s52, s53
	s_mul_hi_u32 s54, s34, s5
	s_addc_u32 s35, s35, s55
	s_addc_u32 s52, s54, 0
	s_mul_i32 s5, s34, s5
	s_add_u32 s5, s35, s5
	s_addc_u32 s35, 0, s52
	s_add_u32 s52, s4, s5
	s_cselect_b64 s[4:5], -1, 0
	s_cmp_lg_u64 s[4:5], 0
	s_addc_u32 s34, s34, s35
	s_mul_i32 s4, s9, s34
	s_mul_hi_u32 s5, s9, s52
	s_add_i32 s4, s5, s4
	s_mul_i32 s29, s29, s52
	s_add_i32 s4, s4, s29
	s_mul_i32 s9, s9, s52
	s_mul_hi_u32 s29, s34, s9
	s_mul_i32 s35, s34, s9
	s_mul_i32 s54, s52, s4
	s_mul_hi_u32 s9, s52, s9
	s_mul_hi_u32 s53, s52, s4
	s_add_u32 s9, s9, s54
	s_addc_u32 s53, 0, s53
	s_add_u32 s9, s9, s35
	s_mul_hi_u32 s5, s34, s4
	s_addc_u32 s9, s53, s29
	s_addc_u32 s5, s5, 0
	s_mul_i32 s4, s34, s4
	s_add_u32 s4, s9, s4
	s_addc_u32 s9, 0, s5
	s_add_u32 s29, s52, s4
	s_cselect_b64 s[4:5], -1, 0
	s_cmp_lg_u64 s[4:5], 0
	s_addc_u32 s9, s34, s9
	v_mad_u64_u32 v[4:5], s[4:5], v8, s9, 0
	v_mul_hi_u32 v6, v8, s29
	v_addc_co_u32_e64 v9, s[4:5], 0, 0, vcc
	v_add_co_u32_e32 v18, vcc, v6, v4
	v_addc_co_u32_e32 v19, vcc, 0, v5, vcc
	v_mad_u64_u32 v[4:5], s[4:5], v9, s29, 0
	v_mad_u64_u32 v[6:7], s[4:5], v9, s9, 0
	v_add_co_u32_e32 v4, vcc, v18, v4
	v_addc_co_u32_e32 v4, vcc, v19, v5, vcc
	v_addc_co_u32_e32 v5, vcc, 0, v7, vcc
	v_add_co_u32_e32 v6, vcc, v4, v6
	v_addc_co_u32_e32 v7, vcc, 0, v5, vcc
	v_mul_lo_u32 v18, s31, v6
	v_mul_lo_u32 v19, s30, v7
	v_mad_u64_u32 v[4:5], s[4:5], s30, v6, 0
	v_add3_u32 v5, v5, v19, v18
	v_sub_u32_e32 v18, v9, v5
	v_mov_b32_e32 v19, s31
	v_sub_co_u32_e32 v4, vcc, v8, v4
	v_subb_co_u32_e64 v8, s[4:5], v18, v19, vcc
	v_subrev_co_u32_e64 v18, s[4:5], s30, v4
	v_subbrev_co_u32_e64 v8, s[4:5], 0, v8, s[4:5]
	v_cmp_le_u32_e64 s[4:5], s31, v8
	v_cndmask_b32_e64 v19, 0, -1, s[4:5]
	v_cmp_le_u32_e64 s[4:5], s30, v18
	v_cndmask_b32_e64 v18, 0, -1, s[4:5]
	v_cmp_eq_u32_e64 s[4:5], s31, v8
	v_cndmask_b32_e64 v8, v19, v18, s[4:5]
	v_add_co_u32_e64 v18, s[4:5], 2, v6
	v_subb_co_u32_e32 v5, vcc, v9, v5, vcc
	v_addc_co_u32_e64 v19, s[4:5], 0, v7, s[4:5]
	v_cmp_le_u32_e32 vcc, s31, v5
	v_add_co_u32_e64 v20, s[4:5], 1, v6
	v_cndmask_b32_e64 v9, 0, -1, vcc
	v_cmp_le_u32_e32 vcc, s30, v4
	v_addc_co_u32_e64 v21, s[4:5], 0, v7, s[4:5]
	v_cndmask_b32_e64 v4, 0, -1, vcc
	v_cmp_eq_u32_e32 vcc, s31, v5
	v_cmp_ne_u32_e64 s[4:5], 0, v8
	v_cndmask_b32_e32 v4, v9, v4, vcc
	v_cndmask_b32_e64 v8, v21, v19, s[4:5]
	v_cmp_ne_u32_e32 vcc, 0, v4
	v_cndmask_b32_e64 v5, v20, v18, s[4:5]
	v_cndmask_b32_e32 v4, v7, v8, vcc
	v_cndmask_b32_e32 v5, v6, v5, vcc
	v_xor_b32_e32 v6, s28, v4
	v_xor_b32_e32 v4, s28, v5
	v_mov_b32_e32 v5, s28
	v_subrev_co_u32_e32 v4, vcc, s28, v4
	v_subb_co_u32_e32 v5, vcc, v6, v5, vcc
.LBB3_33:                               ;   in Loop: Header=BB3_31 Depth=2
	s_andn2_saveexec_b64 s[4:5], s[26:27]
	s_cbranch_execz .LBB3_35
; %bb.34:                               ;   in Loop: Header=BB3_31 Depth=2
	v_cvt_f32_u32_e32 v4, s48
	s_sub_i32 s9, 0, s48
	v_rcp_iflag_f32_e32 v4, v4
	v_mul_f32_e32 v4, 0x4f7ffffe, v4
	v_cvt_u32_f32_e32 v4, v4
	v_mul_lo_u32 v5, s9, v4
	v_mul_hi_u32 v5, v4, v5
	v_add_u32_e32 v4, v4, v5
	v_mul_hi_u32 v4, v1, v4
	v_mul_lo_u32 v5, v4, s48
	v_add_u32_e32 v6, 1, v4
	v_sub_u32_e32 v5, v1, v5
	v_subrev_u32_e32 v7, s48, v5
	v_cmp_le_u32_e32 vcc, s48, v5
	v_cndmask_b32_e32 v5, v5, v7, vcc
	v_cndmask_b32_e32 v4, v4, v6, vcc
	v_add_u32_e32 v6, 1, v4
	v_cmp_le_u32_e32 vcc, s48, v5
	v_cndmask_b32_e32 v4, v4, v6, vcc
	v_mov_b32_e32 v5, v2
.LBB3_35:                               ;   in Loop: Header=BB3_31 Depth=2
	s_or_b64 exec, exec, s[4:5]
	v_mul_lo_u32 v7, v5, s48
	v_mul_lo_u32 v8, v4, s38
	v_mad_u64_u32 v[5:6], s[4:5], v4, s48, 0
	v_add3_u32 v6, v6, v8, v7
	v_sub_co_u32_e32 v5, vcc, v1, v5
	v_subb_co_u32_e32 v6, vcc, 0, v6, vcc
	v_mul_lo_u32 v6, v6, s18
	v_mul_lo_u32 v9, v5, s43
	v_mad_u64_u32 v[7:8], s[4:5], v5, s18, 0
	v_mov_b32_e32 v5, v2
	v_add3_u32 v8, v8, v9, v6
	v_or_b32_e32 v6, s38, v8
	v_cmp_ne_u64_e32 vcc, 0, v[5:6]
                                        ; implicit-def: $vgpr5_vgpr6
	s_and_saveexec_b64 s[4:5], vcc
	s_xor_b64 s[26:27], exec, s[4:5]
	s_cbranch_execz .LBB3_37
; %bb.36:                               ;   in Loop: Header=BB3_31 Depth=2
	s_ashr_i32 s28, s38, 31
	s_add_u32 s4, s48, s28
	s_mov_b32 s29, s28
	s_addc_u32 s5, s38, s28
	s_xor_b64 s[30:31], s[4:5], s[28:29]
	v_cvt_f32_u32_e32 v5, s30
	v_cvt_f32_u32_e32 v6, s31
	s_sub_u32 s9, 0, s30
	s_subb_u32 s29, 0, s31
	v_ashrrev_i32_e32 v9, 31, v8
	v_mac_f32_e32 v5, 0x4f800000, v6
	v_rcp_f32_e32 v5, v5
	v_mul_f32_e32 v5, 0x5f7ffffc, v5
	v_mul_f32_e32 v6, 0x2f800000, v5
	v_trunc_f32_e32 v6, v6
	v_mac_f32_e32 v5, 0xcf800000, v6
	v_cvt_u32_f32_e32 v6, v6
	v_cvt_u32_f32_e32 v5, v5
	v_readfirstlane_b32 s34, v6
	v_readfirstlane_b32 s4, v5
	s_mul_i32 s5, s9, s34
	s_mul_hi_u32 s52, s9, s4
	s_mul_i32 s35, s29, s4
	s_add_i32 s5, s52, s5
	s_add_i32 s5, s5, s35
	s_mul_i32 s53, s9, s4
	s_mul_i32 s52, s4, s5
	s_mul_hi_u32 s54, s4, s53
	s_mul_hi_u32 s35, s4, s5
	s_add_u32 s52, s54, s52
	s_addc_u32 s35, 0, s35
	s_mul_hi_u32 s55, s34, s53
	s_mul_i32 s53, s34, s53
	s_add_u32 s52, s52, s53
	s_mul_hi_u32 s54, s34, s5
	s_addc_u32 s35, s35, s55
	s_addc_u32 s52, s54, 0
	s_mul_i32 s5, s34, s5
	s_add_u32 s5, s35, s5
	s_addc_u32 s35, 0, s52
	s_add_u32 s52, s4, s5
	s_cselect_b64 s[4:5], -1, 0
	s_cmp_lg_u64 s[4:5], 0
	s_addc_u32 s34, s34, s35
	s_mul_i32 s4, s9, s34
	s_mul_hi_u32 s5, s9, s52
	s_add_i32 s4, s5, s4
	s_mul_i32 s29, s29, s52
	s_add_i32 s4, s4, s29
	s_mul_i32 s9, s9, s52
	s_mul_hi_u32 s29, s34, s9
	s_mul_i32 s35, s34, s9
	s_mul_i32 s54, s52, s4
	s_mul_hi_u32 s9, s52, s9
	s_mul_hi_u32 s53, s52, s4
	s_add_u32 s9, s9, s54
	s_addc_u32 s53, 0, s53
	s_add_u32 s9, s9, s35
	s_mul_hi_u32 s5, s34, s4
	s_addc_u32 s9, s53, s29
	s_addc_u32 s5, s5, 0
	s_mul_i32 s4, s34, s4
	s_add_u32 s4, s9, s4
	s_addc_u32 s9, 0, s5
	s_add_u32 s29, s52, s4
	s_cselect_b64 s[4:5], -1, 0
	s_cmp_lg_u64 s[4:5], 0
	v_add_co_u32_e32 v5, vcc, v7, v9
	s_addc_u32 s9, s34, s9
	v_xor_b32_e32 v18, v5, v9
	v_addc_co_u32_e32 v7, vcc, v8, v9, vcc
	v_mad_u64_u32 v[5:6], s[4:5], v18, s9, 0
	v_mul_hi_u32 v8, v18, s29
	v_xor_b32_e32 v19, v7, v9
	v_add_co_u32_e32 v20, vcc, v8, v5
	v_addc_co_u32_e32 v21, vcc, 0, v6, vcc
	v_mad_u64_u32 v[5:6], s[4:5], v19, s29, 0
	v_mad_u64_u32 v[7:8], s[4:5], v19, s9, 0
	v_add_co_u32_e32 v5, vcc, v20, v5
	v_addc_co_u32_e32 v5, vcc, v21, v6, vcc
	v_addc_co_u32_e32 v6, vcc, 0, v8, vcc
	v_add_co_u32_e32 v7, vcc, v5, v7
	v_addc_co_u32_e32 v5, vcc, 0, v6, vcc
	v_mul_lo_u32 v8, s31, v7
	v_mul_lo_u32 v20, s30, v5
	v_mad_u64_u32 v[5:6], s[4:5], s30, v7, 0
	v_add3_u32 v6, v6, v20, v8
	v_sub_u32_e32 v8, v19, v6
	v_mov_b32_e32 v20, s31
	v_sub_co_u32_e32 v5, vcc, v18, v5
	v_subb_co_u32_e64 v8, s[4:5], v8, v20, vcc
	v_subrev_co_u32_e64 v18, s[4:5], s30, v5
	v_subbrev_co_u32_e64 v8, s[4:5], 0, v8, s[4:5]
	v_cmp_le_u32_e64 s[4:5], s31, v8
	v_subb_co_u32_e32 v6, vcc, v19, v6, vcc
	v_cndmask_b32_e64 v20, 0, -1, s[4:5]
	v_cmp_le_u32_e64 s[4:5], s30, v18
	v_cmp_le_u32_e32 vcc, s31, v6
	v_cndmask_b32_e64 v18, 0, -1, s[4:5]
	v_cmp_eq_u32_e64 s[4:5], s31, v8
	v_cndmask_b32_e64 v19, 0, -1, vcc
	v_cmp_le_u32_e32 vcc, s30, v5
	v_cndmask_b32_e64 v8, v20, v18, s[4:5]
	v_cndmask_b32_e64 v5, 0, -1, vcc
	v_cmp_eq_u32_e32 vcc, s31, v6
	v_add_co_u32_e64 v18, s[4:5], 2, v7
	v_add_co_u32_e64 v20, s[4:5], 1, v7
	v_cndmask_b32_e32 v5, v19, v5, vcc
	v_cmp_ne_u32_e32 vcc, 0, v8
	v_cndmask_b32_e32 v6, v20, v18, vcc
	v_cmp_ne_u32_e32 vcc, 0, v5
	v_cndmask_b32_e32 v5, v7, v6, vcc
	v_xor_b32_e32 v6, s28, v9
	v_xor_b32_e32 v5, v5, v6
	v_sub_co_u32_e32 v5, vcc, v5, v6
                                        ; implicit-def: $vgpr7_vgpr8
.LBB3_37:                               ;   in Loop: Header=BB3_31 Depth=2
	s_andn2_saveexec_b64 s[4:5], s[26:27]
	s_cbranch_execz .LBB3_39
; %bb.38:                               ;   in Loop: Header=BB3_31 Depth=2
	v_cvt_f32_u32_e32 v5, s48
	s_sub_i32 s9, 0, s48
	v_rcp_iflag_f32_e32 v5, v5
	v_mul_f32_e32 v5, 0x4f7ffffe, v5
	v_cvt_u32_f32_e32 v5, v5
	v_mul_lo_u32 v6, s9, v5
	v_mul_hi_u32 v6, v5, v6
	v_add_u32_e32 v5, v5, v6
	v_mul_hi_u32 v5, v7, v5
	v_mul_lo_u32 v6, v5, s48
	v_add_u32_e32 v8, 1, v5
	v_sub_u32_e32 v6, v7, v6
	v_subrev_u32_e32 v7, s48, v6
	v_cmp_le_u32_e32 vcc, s48, v6
	v_cndmask_b32_e32 v6, v6, v7, vcc
	v_cndmask_b32_e32 v5, v5, v8, vcc
	v_add_u32_e32 v7, 1, v5
	v_cmp_le_u32_e32 vcc, s48, v6
	v_cndmask_b32_e32 v5, v5, v7, vcc
.LBB3_39:                               ;   in Loop: Header=BB3_31 Depth=2
	s_or_b64 exec, exec, s[4:5]
	v_add_u32_e32 v8, 1, v1
	v_mad_u64_u32 v[6:7], s[4:5], v8, s18, -1
	v_mad_u64_u32 v[7:8], s[4:5], v8, s43, v[7:8]
	v_mov_b32_e32 v8, v2
	v_or_b32_e32 v9, s38, v7
	v_cmp_ne_u64_e32 vcc, 0, v[8:9]
                                        ; implicit-def: $vgpr8_vgpr9
	s_and_saveexec_b64 s[4:5], vcc
	s_xor_b64 s[26:27], exec, s[4:5]
	s_cbranch_execz .LBB3_41
; %bb.40:                               ;   in Loop: Header=BB3_31 Depth=2
	s_ashr_i32 s28, s38, 31
	s_add_u32 s4, s48, s28
	s_mov_b32 s29, s28
	s_addc_u32 s5, s38, s28
	s_xor_b64 s[30:31], s[4:5], s[28:29]
	v_cvt_f32_u32_e32 v8, s30
	v_cvt_f32_u32_e32 v9, s31
	s_sub_u32 s9, 0, s30
	s_subb_u32 s29, 0, s31
	v_ashrrev_i32_e32 v18, 31, v7
	v_mac_f32_e32 v8, 0x4f800000, v9
	v_rcp_f32_e32 v8, v8
	v_add_co_u32_e32 v6, vcc, v6, v18
	v_xor_b32_e32 v19, v6, v18
	v_mul_f32_e32 v8, 0x5f7ffffc, v8
	v_mul_f32_e32 v9, 0x2f800000, v8
	v_trunc_f32_e32 v9, v9
	v_mac_f32_e32 v8, 0xcf800000, v9
	v_cvt_u32_f32_e32 v9, v9
	v_cvt_u32_f32_e32 v8, v8
	v_readfirstlane_b32 s34, v9
	v_readfirstlane_b32 s4, v8
	s_mul_i32 s5, s9, s34
	s_mul_hi_u32 s52, s9, s4
	s_mul_i32 s35, s29, s4
	s_add_i32 s5, s52, s5
	s_add_i32 s5, s5, s35
	s_mul_i32 s53, s9, s4
	s_mul_i32 s52, s4, s5
	s_mul_hi_u32 s54, s4, s53
	s_mul_hi_u32 s35, s4, s5
	s_add_u32 s52, s54, s52
	s_addc_u32 s35, 0, s35
	s_mul_hi_u32 s55, s34, s53
	s_mul_i32 s53, s34, s53
	s_add_u32 s52, s52, s53
	s_mul_hi_u32 s54, s34, s5
	s_addc_u32 s35, s35, s55
	s_addc_u32 s52, s54, 0
	s_mul_i32 s5, s34, s5
	s_add_u32 s5, s35, s5
	s_addc_u32 s35, 0, s52
	s_add_u32 s52, s4, s5
	s_cselect_b64 s[4:5], -1, 0
	s_cmp_lg_u64 s[4:5], 0
	s_addc_u32 s34, s34, s35
	s_mul_i32 s4, s9, s34
	s_mul_hi_u32 s5, s9, s52
	s_add_i32 s4, s5, s4
	s_mul_i32 s29, s29, s52
	s_add_i32 s4, s4, s29
	s_mul_i32 s9, s9, s52
	s_mul_hi_u32 s29, s34, s9
	s_mul_i32 s35, s34, s9
	s_mul_i32 s54, s52, s4
	s_mul_hi_u32 s9, s52, s9
	s_mul_hi_u32 s53, s52, s4
	s_add_u32 s9, s9, s54
	s_addc_u32 s53, 0, s53
	s_add_u32 s9, s9, s35
	s_mul_hi_u32 s5, s34, s4
	s_addc_u32 s9, s53, s29
	s_addc_u32 s5, s5, 0
	s_mul_i32 s4, s34, s4
	s_add_u32 s4, s9, s4
	s_addc_u32 s9, 0, s5
	s_add_u32 s29, s52, s4
	s_cselect_b64 s[4:5], -1, 0
	s_cmp_lg_u64 s[4:5], 0
	s_addc_u32 s9, s34, s9
	v_addc_co_u32_e32 v8, vcc, v7, v18, vcc
	v_mad_u64_u32 v[6:7], s[4:5], v19, s9, 0
	v_mul_hi_u32 v9, v19, s29
	v_xor_b32_e32 v20, v8, v18
	v_add_co_u32_e32 v21, vcc, v9, v6
	v_addc_co_u32_e32 v22, vcc, 0, v7, vcc
	v_mad_u64_u32 v[6:7], s[4:5], v20, s29, 0
	v_mad_u64_u32 v[8:9], s[4:5], v20, s9, 0
	v_add_co_u32_e32 v6, vcc, v21, v6
	v_addc_co_u32_e32 v6, vcc, v22, v7, vcc
	v_addc_co_u32_e32 v7, vcc, 0, v9, vcc
	v_add_co_u32_e32 v8, vcc, v6, v8
	v_addc_co_u32_e32 v6, vcc, 0, v7, vcc
	v_mul_lo_u32 v9, s31, v8
	v_mul_lo_u32 v21, s30, v6
	v_mad_u64_u32 v[6:7], s[4:5], s30, v8, 0
	v_add3_u32 v7, v7, v21, v9
	v_sub_u32_e32 v9, v20, v7
	v_mov_b32_e32 v21, s31
	v_sub_co_u32_e32 v6, vcc, v19, v6
	v_subb_co_u32_e64 v9, s[4:5], v9, v21, vcc
	v_subrev_co_u32_e64 v19, s[4:5], s30, v6
	v_subbrev_co_u32_e64 v9, s[4:5], 0, v9, s[4:5]
	v_cmp_le_u32_e64 s[4:5], s31, v9
	v_subb_co_u32_e32 v7, vcc, v20, v7, vcc
	v_cndmask_b32_e64 v21, 0, -1, s[4:5]
	v_cmp_le_u32_e64 s[4:5], s30, v19
	v_cmp_le_u32_e32 vcc, s31, v7
	v_cndmask_b32_e64 v19, 0, -1, s[4:5]
	v_cmp_eq_u32_e64 s[4:5], s31, v9
	v_cndmask_b32_e64 v20, 0, -1, vcc
	v_cmp_le_u32_e32 vcc, s30, v6
	v_cndmask_b32_e64 v9, v21, v19, s[4:5]
	v_cndmask_b32_e64 v6, 0, -1, vcc
	v_cmp_eq_u32_e32 vcc, s31, v7
	v_add_co_u32_e64 v19, s[4:5], 2, v8
	v_add_co_u32_e64 v21, s[4:5], 1, v8
	v_cndmask_b32_e32 v6, v20, v6, vcc
	v_cmp_ne_u32_e32 vcc, 0, v9
	v_cndmask_b32_e32 v7, v21, v19, vcc
	v_cmp_ne_u32_e32 vcc, 0, v6
	v_cndmask_b32_e32 v6, v8, v7, vcc
	v_xor_b32_e32 v7, s28, v18
	v_xor_b32_e32 v6, v6, v7
	v_sub_co_u32_e32 v8, vcc, v6, v7
                                        ; implicit-def: $vgpr6_vgpr7
.LBB3_41:                               ;   in Loop: Header=BB3_31 Depth=2
	s_andn2_saveexec_b64 s[4:5], s[26:27]
	s_cbranch_execz .LBB3_43
; %bb.42:                               ;   in Loop: Header=BB3_31 Depth=2
	v_cvt_f32_u32_e32 v7, s48
	s_sub_i32 s9, 0, s48
	v_rcp_iflag_f32_e32 v7, v7
	v_mul_f32_e32 v7, 0x4f7ffffe, v7
	v_cvt_u32_f32_e32 v7, v7
	v_mul_lo_u32 v8, s9, v7
	v_mul_hi_u32 v8, v7, v8
	v_add_u32_e32 v7, v7, v8
	v_mul_hi_u32 v7, v6, v7
	v_mul_lo_u32 v8, v7, s48
	v_add_u32_e32 v9, 1, v7
	v_sub_u32_e32 v6, v6, v8
	v_subrev_u32_e32 v8, s48, v6
	v_cmp_le_u32_e32 vcc, s48, v6
	v_cndmask_b32_e32 v6, v6, v8, vcc
	v_cndmask_b32_e32 v7, v7, v9, vcc
	v_add_u32_e32 v8, 1, v7
	v_cmp_le_u32_e32 vcc, s48, v6
	v_cndmask_b32_e32 v8, v7, v8, vcc
.LBB3_43:                               ;   in Loop: Header=BB3_31 Depth=2
	s_or_b64 exec, exec, s[4:5]
	v_mad_u64_u32 v[4:5], s[4:5], v4, s18, v[5:6]
	s_andn2_b64 vcc, exec, s[6:7]
	v_sub_u32_e32 v5, v8, v4
	v_add_u32_e32 v6, 1, v5
	s_cbranch_vccnz .LBB3_29
; %bb.44:                               ;   in Loop: Header=BB3_31 Depth=2
	s_mov_b32 s9, 0
	v_cmp_lt_i32_e32 vcc, 0, v6
	v_mov_b32_e32 v5, 0
	s_branch .LBB3_47
.LBB3_45:                               ;   in Loop: Header=BB3_47 Depth=3
	s_or_b64 exec, exec, s[28:29]
.LBB3_46:                               ;   in Loop: Header=BB3_47 Depth=3
	s_or_b64 exec, exec, s[26:27]
	s_add_i32 s9, s9, 1
	s_cmp_lt_i32 s9, s33
	s_cbranch_scc0 .LBB3_30
.LBB3_47:                               ;   Parent Loop BB3_15 Depth=1
                                        ;     Parent Loop BB3_31 Depth=2
                                        ; =>    This Loop Header: Depth=3
                                        ;         Child Loop BB3_50 Depth 4
                                        ;           Child Loop BB3_52 Depth 5
	s_and_saveexec_b64 s[26:27], s[2:3]
	s_cbranch_execz .LBB3_46
; %bb.48:                               ;   in Loop: Header=BB3_47 Depth=3
	s_add_i32 s4, s9, s19
	s_ashr_i32 s5, s4, 31
	s_mul_i32 s5, s14, s5
	s_mul_hi_u32 s28, s14, s4
	s_add_i32 s5, s28, s5
	s_mul_i32 s28, s15, s4
	s_add_i32 s5, s5, s28
	s_mul_i32 s4, s14, s4
	s_lshl_b64 s[4:5], s[4:5], 1
	s_add_u32 s52, s44, s4
	s_addc_u32 s53, s45, s5
	s_mov_b32 s54, 0
	s_mov_b64 s[28:29], 0
	s_branch .LBB3_50
.LBB3_49:                               ;   in Loop: Header=BB3_50 Depth=4
	s_or_b64 exec, exec, s[30:31]
	s_add_i32 s54, s54, 1
	v_cmp_ge_i32_e64 s[4:5], s54, v14
	s_or_b64 s[28:29], s[4:5], s[28:29]
	s_andn2_b64 exec, exec, s[28:29]
	s_cbranch_execz .LBB3_45
.LBB3_50:                               ;   Parent Loop BB3_15 Depth=1
                                        ;     Parent Loop BB3_31 Depth=2
                                        ;       Parent Loop BB3_47 Depth=3
                                        ; =>      This Loop Header: Depth=4
                                        ;           Child Loop BB3_52 Depth 5
	s_and_saveexec_b64 s[30:31], vcc
	s_cbranch_execz .LBB3_49
; %bb.51:                               ;   in Loop: Header=BB3_50 Depth=4
	v_add_u32_e32 v7, s54, v3
	v_ashrrev_i32_e32 v9, 31, v7
	v_mul_lo_u32 v18, s21, v7
	v_mad_u64_u32 v[7:8], s[4:5], s20, v7, 0
	v_mul_lo_u32 v9, s20, v9
	s_mov_b32 s55, 0
	s_mov_b64 s[34:35], 0
	v_add3_u32 v8, v8, v9, v18
	v_lshlrev_b64 v[7:8], 1, v[7:8]
	v_mov_b32_e32 v9, s53
	v_add_co_u32_e64 v7, s[4:5], s52, v7
	v_addc_co_u32_e64 v8, s[4:5], v9, v8, s[4:5]
.LBB3_52:                               ;   Parent Loop BB3_15 Depth=1
                                        ;     Parent Loop BB3_31 Depth=2
                                        ;       Parent Loop BB3_47 Depth=3
                                        ;         Parent Loop BB3_50 Depth=4
                                        ; =>        This Inner Loop Header: Depth=5
	v_add_u32_e32 v9, s55, v4
	v_ashrrev_i32_e32 v20, 31, v9
	v_mul_lo_u32 v21, s23, v9
	v_mad_u64_u32 v[18:19], s[4:5], s22, v9, 0
	v_mul_lo_u32 v9, s22, v20
	s_add_i32 s55, s55, 1
	v_add3_u32 v19, v19, v9, v21
	v_lshlrev_b64 v[18:19], 1, v[18:19]
	v_add_co_u32_e64 v18, s[4:5], v7, v18
	v_addc_co_u32_e64 v19, s[4:5], v8, v19, s[4:5]
	global_load_ushort v9, v[18:19], off
	v_cmp_ge_i32_e64 s[4:5], s55, v6
	s_or_b64 s[34:35], s[4:5], s[34:35]
	s_waitcnt vmcnt(0)
	v_lshlrev_b32_e32 v9, 16, v9
	v_add_f32_e32 v5, v5, v9
	s_andn2_b64 exec, exec, s[34:35]
	s_cbranch_execnz .LBB3_52
; %bb.53:                               ;   in Loop: Header=BB3_50 Depth=4
	s_or_b64 exec, exec, s[34:35]
	s_branch .LBB3_49
.LBB3_54:
	s_endpgm
.LBB3_55:
                                        ; implicit-def: $sgpr0_sgpr1
	s_branch .LBB3_2
.LBB3_56:
                                        ; implicit-def: $sgpr28_sgpr29
	s_branch .LBB3_5
.LBB3_57:
                                        ; implicit-def: $sgpr30_sgpr31
	s_load_dword s31, s[4:5], 0x6c
	s_andn2_b64 vcc, exec, s[10:11]
	s_cbranch_vccz .LBB3_8
	s_branch .LBB3_9
.LBB3_58:
                                        ; implicit-def: $sgpr34_sgpr35
	s_load_dword s49, s[4:5], 0x64
	s_branch .LBB3_12
	.section	.rodata,"a",@progbits
	.p2align	6, 0x0
	.amdhsa_kernel _ZN2at6native12_GLOBAL__N_119adaptiveaveragepoolIN3c108BFloat16EfEEvPKT_PS5_iiiiiilllllll
		.amdhsa_group_segment_fixed_size 0
		.amdhsa_private_segment_fixed_size 0
		.amdhsa_kernarg_size 352
		.amdhsa_user_sgpr_count 6
		.amdhsa_user_sgpr_private_segment_buffer 1
		.amdhsa_user_sgpr_dispatch_ptr 0
		.amdhsa_user_sgpr_queue_ptr 0
		.amdhsa_user_sgpr_kernarg_segment_ptr 1
		.amdhsa_user_sgpr_dispatch_id 0
		.amdhsa_user_sgpr_flat_scratch_init 0
		.amdhsa_user_sgpr_private_segment_size 0
		.amdhsa_uses_dynamic_stack 0
		.amdhsa_system_sgpr_private_segment_wavefront_offset 0
		.amdhsa_system_sgpr_workgroup_id_x 1
		.amdhsa_system_sgpr_workgroup_id_y 1
		.amdhsa_system_sgpr_workgroup_id_z 0
		.amdhsa_system_sgpr_workgroup_info 0
		.amdhsa_system_vgpr_workitem_id 1
		.amdhsa_next_free_vgpr 23
		.amdhsa_next_free_sgpr 56
		.amdhsa_reserve_vcc 1
		.amdhsa_reserve_flat_scratch 0
		.amdhsa_float_round_mode_32 0
		.amdhsa_float_round_mode_16_64 0
		.amdhsa_float_denorm_mode_32 3
		.amdhsa_float_denorm_mode_16_64 3
		.amdhsa_dx10_clamp 1
		.amdhsa_ieee_mode 1
		.amdhsa_fp16_overflow 0
		.amdhsa_exception_fp_ieee_invalid_op 0
		.amdhsa_exception_fp_denorm_src 0
		.amdhsa_exception_fp_ieee_div_zero 0
		.amdhsa_exception_fp_ieee_overflow 0
		.amdhsa_exception_fp_ieee_underflow 0
		.amdhsa_exception_fp_ieee_inexact 0
		.amdhsa_exception_int_div_zero 0
	.end_amdhsa_kernel
	.section	.text._ZN2at6native12_GLOBAL__N_119adaptiveaveragepoolIN3c108BFloat16EfEEvPKT_PS5_iiiiiilllllll,"axG",@progbits,_ZN2at6native12_GLOBAL__N_119adaptiveaveragepoolIN3c108BFloat16EfEEvPKT_PS5_iiiiiilllllll,comdat
.Lfunc_end3:
	.size	_ZN2at6native12_GLOBAL__N_119adaptiveaveragepoolIN3c108BFloat16EfEEvPKT_PS5_iiiiiilllllll, .Lfunc_end3-_ZN2at6native12_GLOBAL__N_119adaptiveaveragepoolIN3c108BFloat16EfEEvPKT_PS5_iiiiiilllllll
                                        ; -- End function
	.set _ZN2at6native12_GLOBAL__N_119adaptiveaveragepoolIN3c108BFloat16EfEEvPKT_PS5_iiiiiilllllll.num_vgpr, 23
	.set _ZN2at6native12_GLOBAL__N_119adaptiveaveragepoolIN3c108BFloat16EfEEvPKT_PS5_iiiiiilllllll.num_agpr, 0
	.set _ZN2at6native12_GLOBAL__N_119adaptiveaveragepoolIN3c108BFloat16EfEEvPKT_PS5_iiiiiilllllll.numbered_sgpr, 56
	.set _ZN2at6native12_GLOBAL__N_119adaptiveaveragepoolIN3c108BFloat16EfEEvPKT_PS5_iiiiiilllllll.num_named_barrier, 0
	.set _ZN2at6native12_GLOBAL__N_119adaptiveaveragepoolIN3c108BFloat16EfEEvPKT_PS5_iiiiiilllllll.private_seg_size, 0
	.set _ZN2at6native12_GLOBAL__N_119adaptiveaveragepoolIN3c108BFloat16EfEEvPKT_PS5_iiiiiilllllll.uses_vcc, 1
	.set _ZN2at6native12_GLOBAL__N_119adaptiveaveragepoolIN3c108BFloat16EfEEvPKT_PS5_iiiiiilllllll.uses_flat_scratch, 0
	.set _ZN2at6native12_GLOBAL__N_119adaptiveaveragepoolIN3c108BFloat16EfEEvPKT_PS5_iiiiiilllllll.has_dyn_sized_stack, 0
	.set _ZN2at6native12_GLOBAL__N_119adaptiveaveragepoolIN3c108BFloat16EfEEvPKT_PS5_iiiiiilllllll.has_recursion, 0
	.set _ZN2at6native12_GLOBAL__N_119adaptiveaveragepoolIN3c108BFloat16EfEEvPKT_PS5_iiiiiilllllll.has_indirect_call, 0
	.section	.AMDGPU.csdata,"",@progbits
; Kernel info:
; codeLenInByte = 7764
; TotalNumSgprs: 60
; NumVgprs: 23
; ScratchSize: 0
; MemoryBound: 0
; FloatMode: 240
; IeeeMode: 1
; LDSByteSize: 0 bytes/workgroup (compile time only)
; SGPRBlocks: 7
; VGPRBlocks: 5
; NumSGPRsForWavesPerEU: 60
; NumVGPRsForWavesPerEU: 23
; Occupancy: 10
; WaveLimiterHint : 0
; COMPUTE_PGM_RSRC2:SCRATCH_EN: 0
; COMPUTE_PGM_RSRC2:USER_SGPR: 6
; COMPUTE_PGM_RSRC2:TRAP_HANDLER: 0
; COMPUTE_PGM_RSRC2:TGID_X_EN: 1
; COMPUTE_PGM_RSRC2:TGID_Y_EN: 1
; COMPUTE_PGM_RSRC2:TGID_Z_EN: 0
; COMPUTE_PGM_RSRC2:TIDIG_COMP_CNT: 1
	.section	.text._ZN2at6native12_GLOBAL__N_130atomicadaptiveaveragegradinputIdEEvPT_PKS3_iiiiiil,"axG",@progbits,_ZN2at6native12_GLOBAL__N_130atomicadaptiveaveragegradinputIdEEvPT_PKS3_iiiiiil,comdat
	.globl	_ZN2at6native12_GLOBAL__N_130atomicadaptiveaveragegradinputIdEEvPT_PKS3_iiiiiil ; -- Begin function _ZN2at6native12_GLOBAL__N_130atomicadaptiveaveragegradinputIdEEvPT_PKS3_iiiiiil
	.p2align	8
	.type	_ZN2at6native12_GLOBAL__N_130atomicadaptiveaveragegradinputIdEEvPT_PKS3_iiiiiil,@function
_ZN2at6native12_GLOBAL__N_130atomicadaptiveaveragegradinputIdEEvPT_PKS3_iiiiiil: ; @_ZN2at6native12_GLOBAL__N_130atomicadaptiveaveragegradinputIdEEvPT_PKS3_iiiiiil
; %bb.0:
	s_load_dwordx8 s[8:15], s[4:5], 0x10
	s_mov_b32 s16, 0
	s_waitcnt lgkmcnt(0)
	s_add_u32 s0, s14, s6
	s_addc_u32 s1, s15, 0
	s_ashr_i32 s3, s11, 31
	s_mov_b32 s2, s11
	s_or_b64 s[14:15], s[0:1], s[2:3]
	s_mov_b32 s17, s15
	s_cmp_lg_u64 s[16:17], 0
	s_cbranch_scc0 .LBB4_47
; %bb.1:
	s_ashr_i32 s14, s3, 31
	s_add_u32 s16, s2, s14
	s_mov_b32 s15, s14
	s_addc_u32 s17, s3, s14
	s_xor_b64 s[18:19], s[16:17], s[14:15]
	v_cvt_f32_u32_e32 v2, s18
	v_cvt_f32_u32_e32 v3, s19
	s_sub_u32 s6, 0, s18
	s_subb_u32 s11, 0, s19
	v_madmk_f32 v2, v3, 0x4f800000, v2
	v_rcp_f32_e32 v2, v2
	v_mul_f32_e32 v2, 0x5f7ffffc, v2
	v_mul_f32_e32 v3, 0x2f800000, v2
	v_trunc_f32_e32 v3, v3
	v_madmk_f32 v2, v3, 0xcf800000, v2
	v_cvt_u32_f32_e32 v3, v3
	v_cvt_u32_f32_e32 v2, v2
	v_readfirstlane_b32 s22, v3
	v_readfirstlane_b32 s20, v2
	s_mul_i32 s21, s6, s22
	s_mul_hi_u32 s24, s6, s20
	s_mul_i32 s23, s11, s20
	s_add_i32 s21, s24, s21
	s_add_i32 s21, s21, s23
	s_mul_i32 s25, s6, s20
	s_mul_i32 s24, s20, s21
	s_mul_hi_u32 s26, s20, s25
	s_mul_hi_u32 s23, s20, s21
	s_add_u32 s24, s26, s24
	s_addc_u32 s23, 0, s23
	s_mul_hi_u32 s27, s22, s25
	s_mul_i32 s25, s22, s25
	s_add_u32 s24, s24, s25
	s_mul_hi_u32 s26, s22, s21
	s_addc_u32 s23, s23, s27
	s_addc_u32 s24, s26, 0
	s_mul_i32 s21, s22, s21
	s_add_u32 s21, s23, s21
	s_addc_u32 s23, 0, s24
	s_add_u32 s24, s20, s21
	s_cselect_b64 s[20:21], -1, 0
	s_cmp_lg_u64 s[20:21], 0
	s_addc_u32 s22, s22, s23
	s_mul_i32 s20, s6, s22
	s_mul_hi_u32 s21, s6, s24
	s_add_i32 s20, s21, s20
	s_mul_i32 s11, s11, s24
	s_add_i32 s20, s20, s11
	s_mul_i32 s6, s6, s24
	s_mul_hi_u32 s21, s22, s6
	s_mul_i32 s23, s22, s6
	s_mul_i32 s26, s24, s20
	s_mul_hi_u32 s6, s24, s6
	s_mul_hi_u32 s25, s24, s20
	s_add_u32 s6, s6, s26
	s_addc_u32 s25, 0, s25
	s_add_u32 s6, s6, s23
	s_mul_hi_u32 s11, s22, s20
	s_addc_u32 s6, s25, s21
	s_addc_u32 s11, s11, 0
	s_mul_i32 s20, s22, s20
	s_add_u32 s6, s6, s20
	s_addc_u32 s11, 0, s11
	s_add_u32 s6, s24, s6
	s_cselect_b64 s[20:21], -1, 0
	s_cmp_lg_u64 s[20:21], 0
	s_addc_u32 s11, s22, s11
	s_ashr_i32 s20, s1, 31
	s_add_u32 s22, s0, s20
	s_mov_b32 s21, s20
	s_addc_u32 s23, s1, s20
	s_xor_b64 s[22:23], s[22:23], s[20:21]
	s_mul_i32 s25, s22, s11
	s_mul_hi_u32 s26, s22, s6
	s_mul_hi_u32 s24, s22, s11
	s_add_u32 s25, s26, s25
	s_addc_u32 s24, 0, s24
	s_mul_hi_u32 s27, s23, s6
	s_mul_i32 s6, s23, s6
	s_add_u32 s6, s25, s6
	s_mul_hi_u32 s26, s23, s11
	s_addc_u32 s6, s24, s27
	s_addc_u32 s24, s26, 0
	s_mul_i32 s11, s23, s11
	s_add_u32 s6, s6, s11
	s_addc_u32 s11, 0, s24
	s_mul_i32 s24, s18, s11
	s_mul_hi_u32 s25, s18, s6
	s_add_i32 s24, s25, s24
	s_mul_i32 s25, s19, s6
	s_add_i32 s28, s24, s25
	s_sub_i32 s26, s23, s28
	s_mul_i32 s24, s18, s6
	s_sub_u32 s22, s22, s24
	s_cselect_b64 s[24:25], -1, 0
	s_cmp_lg_u64 s[24:25], 0
	s_subb_u32 s29, s26, s19
	s_sub_u32 s30, s22, s18
	s_cselect_b64 s[26:27], -1, 0
	s_cmp_lg_u64 s[26:27], 0
	s_subb_u32 s26, s29, 0
	s_cmp_ge_u32 s26, s19
	s_cselect_b32 s27, -1, 0
	s_cmp_ge_u32 s30, s18
	s_cselect_b32 s29, -1, 0
	s_cmp_eq_u32 s26, s19
	s_cselect_b32 s26, s29, s27
	s_add_u32 s27, s6, 1
	s_addc_u32 s29, s11, 0
	s_add_u32 s30, s6, 2
	s_addc_u32 s31, s11, 0
	s_cmp_lg_u32 s26, 0
	s_cselect_b32 s26, s30, s27
	s_cselect_b32 s27, s31, s29
	s_cmp_lg_u64 s[24:25], 0
	s_subb_u32 s23, s23, s28
	s_cmp_ge_u32 s23, s19
	s_cselect_b32 s24, -1, 0
	s_cmp_ge_u32 s22, s18
	s_cselect_b32 s18, -1, 0
	s_cmp_eq_u32 s23, s19
	s_cselect_b32 s18, s18, s24
	s_cmp_lg_u32 s18, 0
	s_cselect_b32 s19, s27, s11
	s_cselect_b32 s18, s26, s6
	s_xor_b64 s[14:15], s[20:21], s[14:15]
	s_xor_b64 s[18:19], s[18:19], s[14:15]
	s_sub_u32 s14, s18, s14
	s_subb_u32 s15, s19, s15
	s_cbranch_execnz .LBB4_3
.LBB4_2:
	v_cvt_f32_u32_e32 v2, s2
	s_sub_i32 s6, 0, s2
	s_mov_b32 s15, 0
	v_rcp_iflag_f32_e32 v2, v2
	v_mul_f32_e32 v2, 0x4f7ffffe, v2
	v_cvt_u32_f32_e32 v2, v2
	v_readfirstlane_b32 s11, v2
	s_mul_i32 s6, s6, s11
	s_mul_hi_u32 s6, s11, s6
	s_add_i32 s11, s11, s6
	s_mul_hi_u32 s6, s0, s11
	s_mul_i32 s14, s6, s2
	s_sub_i32 s14, s0, s14
	s_add_i32 s11, s6, 1
	s_sub_i32 s16, s14, s2
	s_cmp_ge_u32 s14, s2
	s_cselect_b32 s6, s11, s6
	s_cselect_b32 s14, s16, s14
	s_add_i32 s11, s6, 1
	s_cmp_ge_u32 s14, s2
	s_cselect_b32 s14, s11, s6
.LBB4_3:
	s_mul_i32 s6, s14, s3
	s_mul_hi_u32 s11, s14, s2
	s_add_i32 s6, s11, s6
	s_mul_i32 s11, s15, s2
	s_add_i32 s6, s6, s11
	s_mul_i32 s11, s14, s2
	s_sub_u32 s11, s0, s11
	s_subb_u32 s15, s1, s6
	s_abs_i32 s6, s2
	v_cvt_f32_u32_e32 v2, s6
	s_sub_i32 s19, 0, s6
	s_abs_i32 s18, s11
	s_xor_b32 s16, s11, s2
	v_rcp_iflag_f32_e32 v2, v2
	s_ashr_i32 s24, s8, 31
	s_ashr_i32 s17, s16, 31
	s_mov_b32 s16, 0
	v_mul_f32_e32 v2, 0x4f7ffffe, v2
	v_cvt_u32_f32_e32 v2, v2
	v_readfirstlane_b32 s20, v2
	s_mul_i32 s19, s19, s20
	s_mul_hi_u32 s19, s20, s19
	s_add_i32 s20, s20, s19
	s_mul_hi_u32 s19, s18, s20
	s_mul_i32 s20, s19, s6
	s_sub_i32 s18, s18, s20
	s_add_i32 s20, s19, 1
	s_sub_i32 s21, s18, s6
	s_cmp_ge_u32 s18, s6
	s_cselect_b32 s19, s20, s19
	s_cselect_b32 s18, s21, s18
	s_add_i32 s20, s19, 1
	s_cmp_ge_u32 s18, s6
	s_cselect_b32 s6, s20, s19
	s_xor_b32 s6, s6, s17
	s_sub_i32 s6, s6, s17
	s_mul_i32 s17, s6, s2
	s_sub_i32 s17, s11, s17
	s_mul_hi_i32 s19, s17, s8
	s_mul_i32 s18, s17, s8
	s_or_b64 s[20:21], s[18:19], s[2:3]
	s_mov_b32 s17, s21
	s_cmp_lg_u64 s[16:17], 0
	s_cbranch_scc0 .LBB4_48
; %bb.4:
	s_ashr_i32 s16, s3, 31
	s_add_u32 s20, s2, s16
	s_mov_b32 s17, s16
	s_addc_u32 s21, s3, s16
	s_xor_b64 s[22:23], s[20:21], s[16:17]
	v_cvt_f32_u32_e32 v2, s22
	v_cvt_f32_u32_e32 v3, s23
	s_sub_u32 s25, 0, s22
	s_subb_u32 s28, 0, s23
	v_madmk_f32 v2, v3, 0x4f800000, v2
	v_rcp_f32_e32 v2, v2
	v_mul_f32_e32 v2, 0x5f7ffffc, v2
	v_mul_f32_e32 v3, 0x2f800000, v2
	v_trunc_f32_e32 v3, v3
	v_madmk_f32 v2, v3, 0xcf800000, v2
	v_cvt_u32_f32_e32 v3, v3
	v_cvt_u32_f32_e32 v2, v2
	v_readfirstlane_b32 s29, v3
	v_readfirstlane_b32 s26, v2
	s_mul_i32 s27, s25, s29
	s_mul_hi_u32 s31, s25, s26
	s_mul_i32 s30, s28, s26
	s_add_i32 s27, s31, s27
	s_add_i32 s27, s27, s30
	s_mul_i32 s33, s25, s26
	s_mul_i32 s31, s26, s27
	s_mul_hi_u32 s34, s26, s33
	s_mul_hi_u32 s30, s26, s27
	s_add_u32 s31, s34, s31
	s_addc_u32 s30, 0, s30
	s_mul_hi_u32 s35, s29, s33
	s_mul_i32 s33, s29, s33
	s_add_u32 s31, s31, s33
	s_mul_hi_u32 s34, s29, s27
	s_addc_u32 s30, s30, s35
	s_addc_u32 s31, s34, 0
	s_mul_i32 s27, s29, s27
	s_add_u32 s27, s30, s27
	s_addc_u32 s30, 0, s31
	s_add_u32 s31, s26, s27
	s_cselect_b64 s[26:27], -1, 0
	s_cmp_lg_u64 s[26:27], 0
	s_addc_u32 s29, s29, s30
	s_mul_i32 s26, s25, s29
	s_mul_hi_u32 s27, s25, s31
	s_add_i32 s26, s27, s26
	s_mul_i32 s28, s28, s31
	s_add_i32 s26, s26, s28
	s_mul_i32 s25, s25, s31
	s_mul_hi_u32 s28, s29, s25
	s_mul_i32 s30, s29, s25
	s_mul_i32 s34, s31, s26
	s_mul_hi_u32 s25, s31, s25
	s_mul_hi_u32 s33, s31, s26
	s_add_u32 s25, s25, s34
	s_addc_u32 s33, 0, s33
	s_add_u32 s25, s25, s30
	s_mul_hi_u32 s27, s29, s26
	s_addc_u32 s25, s33, s28
	s_addc_u32 s27, s27, 0
	s_mul_i32 s26, s29, s26
	s_add_u32 s25, s25, s26
	s_addc_u32 s28, 0, s27
	s_add_u32 s25, s31, s25
	s_cselect_b64 s[26:27], -1, 0
	s_cmp_lg_u64 s[26:27], 0
	s_addc_u32 s30, s29, s28
	s_ashr_i32 s26, s19, 31
	s_add_u32 s28, s18, s26
	s_mov_b32 s27, s26
	s_addc_u32 s29, s19, s26
	s_xor_b64 s[28:29], s[28:29], s[26:27]
	s_mul_i32 s31, s28, s30
	s_mul_hi_u32 s33, s28, s25
	s_mul_hi_u32 s19, s28, s30
	s_add_u32 s31, s33, s31
	s_addc_u32 s19, 0, s19
	s_mul_hi_u32 s34, s29, s25
	s_mul_i32 s25, s29, s25
	s_add_u32 s25, s31, s25
	s_mul_hi_u32 s33, s29, s30
	s_addc_u32 s19, s19, s34
	s_addc_u32 s25, s33, 0
	s_mul_i32 s30, s29, s30
	s_add_u32 s19, s19, s30
	s_addc_u32 s25, 0, s25
	s_mul_i32 s30, s22, s25
	s_mul_hi_u32 s31, s22, s19
	s_add_i32 s30, s31, s30
	s_mul_i32 s31, s23, s19
	s_add_i32 s33, s30, s31
	s_sub_i32 s34, s29, s33
	s_mul_i32 s30, s22, s19
	s_sub_u32 s28, s28, s30
	s_cselect_b64 s[30:31], -1, 0
	s_cmp_lg_u64 s[30:31], 0
	s_subb_u32 s36, s34, s23
	s_sub_u32 s37, s28, s22
	s_cselect_b64 s[34:35], -1, 0
	s_cmp_lg_u64 s[34:35], 0
	s_subb_u32 s34, s36, 0
	s_cmp_ge_u32 s34, s23
	s_cselect_b32 s35, -1, 0
	s_cmp_ge_u32 s37, s22
	s_cselect_b32 s36, -1, 0
	s_cmp_eq_u32 s34, s23
	s_cselect_b32 s34, s36, s35
	s_add_u32 s35, s19, 1
	s_addc_u32 s36, s25, 0
	s_add_u32 s37, s19, 2
	s_addc_u32 s38, s25, 0
	s_cmp_lg_u32 s34, 0
	s_cselect_b32 s34, s37, s35
	s_cselect_b32 s35, s38, s36
	s_cmp_lg_u64 s[30:31], 0
	s_subb_u32 s29, s29, s33
	s_cmp_ge_u32 s29, s23
	s_cselect_b32 s30, -1, 0
	s_cmp_ge_u32 s28, s22
	s_cselect_b32 s22, -1, 0
	s_cmp_eq_u32 s29, s23
	s_cselect_b32 s22, s22, s30
	s_cmp_lg_u32 s22, 0
	s_cselect_b32 s23, s35, s25
	s_cselect_b32 s22, s34, s19
	s_xor_b64 s[16:17], s[26:27], s[16:17]
	s_xor_b64 s[22:23], s[22:23], s[16:17]
	s_sub_u32 s16, s22, s16
	s_cbranch_execnz .LBB4_6
.LBB4_5:
	v_cvt_f32_u32_e32 v2, s2
	s_sub_i32 s16, 0, s2
	v_rcp_iflag_f32_e32 v2, v2
	v_mul_f32_e32 v2, 0x4f7ffffe, v2
	v_cvt_u32_f32_e32 v2, v2
	v_readfirstlane_b32 s17, v2
	s_mul_i32 s16, s16, s17
	s_mul_hi_u32 s16, s17, s16
	s_add_i32 s17, s17, s16
	s_mul_hi_u32 s16, s18, s17
	s_mul_i32 s19, s16, s2
	s_sub_i32 s18, s18, s19
	s_add_i32 s17, s16, 1
	s_sub_i32 s19, s18, s2
	s_cmp_ge_u32 s18, s2
	s_cselect_b32 s16, s17, s16
	s_cselect_b32 s18, s19, s18
	s_add_i32 s17, s16, 1
	s_cmp_ge_u32 s18, s2
	s_cselect_b32 s16, s17, s16
.LBB4_6:
	s_add_u32 s11, s11, 1
	s_addc_u32 s15, s15, 0
	s_mul_i32 s17, s11, s24
	s_mul_hi_u32 s18, s11, s8
	s_add_i32 s17, s18, s17
	s_mul_i32 s15, s15, s8
	s_add_i32 s17, s17, s15
	s_mul_i32 s11, s11, s8
	s_add_u32 s18, s11, -1
	s_addc_u32 s19, s17, -1
	s_or_b64 s[20:21], s[18:19], s[2:3]
	s_mov_b32 s20, 0
	s_cmp_lg_u64 s[20:21], 0
	s_mov_b64 s[20:21], -1
	s_cbranch_scc0 .LBB4_49
; %bb.7:
	s_ashr_i32 s22, s3, 31
	s_add_u32 s20, s2, s22
	s_mov_b32 s23, s22
	s_addc_u32 s21, s3, s22
	s_xor_b64 s[24:25], s[20:21], s[22:23]
	v_cvt_f32_u32_e32 v2, s24
	v_cvt_f32_u32_e32 v3, s25
	s_sub_u32 s3, 0, s24
	s_subb_u32 s11, 0, s25
	v_madmk_f32 v2, v3, 0x4f800000, v2
	v_rcp_f32_e32 v2, v2
	v_mul_f32_e32 v2, 0x5f7ffffc, v2
	v_mul_f32_e32 v3, 0x2f800000, v2
	v_trunc_f32_e32 v3, v3
	v_madmk_f32 v2, v3, 0xcf800000, v2
	v_cvt_u32_f32_e32 v3, v3
	v_cvt_u32_f32_e32 v2, v2
	v_readfirstlane_b32 s15, v3
	v_readfirstlane_b32 s17, v2
	s_mul_i32 s26, s3, s15
	s_mul_hi_u32 s28, s3, s17
	s_mul_i32 s27, s11, s17
	s_add_i32 s26, s28, s26
	s_add_i32 s26, s26, s27
	s_mul_i32 s29, s3, s17
	s_mul_i32 s28, s17, s26
	s_mul_hi_u32 s30, s17, s29
	s_mul_hi_u32 s27, s17, s26
	s_add_u32 s28, s30, s28
	s_addc_u32 s27, 0, s27
	s_mul_hi_u32 s31, s15, s29
	s_mul_i32 s29, s15, s29
	s_add_u32 s28, s28, s29
	s_mul_hi_u32 s30, s15, s26
	s_addc_u32 s27, s27, s31
	s_addc_u32 s28, s30, 0
	s_mul_i32 s26, s15, s26
	s_add_u32 s26, s27, s26
	s_addc_u32 s28, 0, s28
	s_add_u32 s17, s17, s26
	s_cselect_b64 s[26:27], -1, 0
	s_cmp_lg_u64 s[26:27], 0
	s_addc_u32 s15, s15, s28
	s_mul_i32 s26, s3, s15
	s_mul_hi_u32 s27, s3, s17
	s_add_i32 s26, s27, s26
	s_mul_i32 s11, s11, s17
	s_add_i32 s26, s26, s11
	s_mul_i32 s3, s3, s17
	s_mul_hi_u32 s27, s15, s3
	s_mul_i32 s28, s15, s3
	s_mul_i32 s30, s17, s26
	s_mul_hi_u32 s3, s17, s3
	s_mul_hi_u32 s29, s17, s26
	s_add_u32 s3, s3, s30
	s_addc_u32 s29, 0, s29
	s_add_u32 s3, s3, s28
	s_mul_hi_u32 s11, s15, s26
	s_addc_u32 s3, s29, s27
	s_addc_u32 s11, s11, 0
	s_mul_i32 s26, s15, s26
	s_add_u32 s3, s3, s26
	s_addc_u32 s11, 0, s11
	s_add_u32 s3, s17, s3
	s_cselect_b64 s[26:27], -1, 0
	s_cmp_lg_u64 s[26:27], 0
	s_addc_u32 s11, s15, s11
	s_ashr_i32 s26, s19, 31
	s_add_u32 s28, s18, s26
	s_mov_b32 s27, s26
	s_addc_u32 s29, s19, s26
	s_xor_b64 s[28:29], s[28:29], s[26:27]
	s_mul_i32 s17, s28, s11
	s_mul_hi_u32 s19, s28, s3
	s_mul_hi_u32 s15, s28, s11
	s_add_u32 s17, s19, s17
	s_addc_u32 s15, 0, s15
	s_mul_hi_u32 s30, s29, s3
	s_mul_i32 s3, s29, s3
	s_add_u32 s3, s17, s3
	s_mul_hi_u32 s19, s29, s11
	s_addc_u32 s3, s15, s30
	s_addc_u32 s15, s19, 0
	s_mul_i32 s11, s29, s11
	s_add_u32 s3, s3, s11
	s_addc_u32 s11, 0, s15
	s_mul_i32 s15, s24, s11
	s_mul_hi_u32 s17, s24, s3
	s_add_i32 s15, s17, s15
	s_mul_i32 s17, s25, s3
	s_add_i32 s15, s15, s17
	s_sub_i32 s17, s29, s15
	s_mul_i32 s19, s24, s3
	s_sub_u32 s19, s28, s19
	s_cselect_b64 s[30:31], -1, 0
	s_cmp_lg_u64 s[30:31], 0
	s_subb_u32 s17, s17, s25
	s_sub_u32 s28, s19, s24
	s_cselect_b64 s[34:35], -1, 0
	s_cmp_lg_u64 s[34:35], 0
	s_subb_u32 s17, s17, 0
	s_cmp_ge_u32 s17, s25
	s_cselect_b32 s33, -1, 0
	s_cmp_ge_u32 s28, s24
	s_cselect_b32 s28, -1, 0
	s_cmp_eq_u32 s17, s25
	s_cselect_b32 s17, s28, s33
	s_add_u32 s28, s3, 1
	s_addc_u32 s33, s11, 0
	s_add_u32 s34, s3, 2
	s_addc_u32 s35, s11, 0
	s_cmp_lg_u32 s17, 0
	s_cselect_b32 s17, s34, s28
	s_cselect_b32 s28, s35, s33
	s_cmp_lg_u64 s[30:31], 0
	s_subb_u32 s15, s29, s15
	s_cmp_ge_u32 s15, s25
	s_cselect_b32 s29, -1, 0
	s_cmp_ge_u32 s19, s24
	s_cselect_b32 s19, -1, 0
	s_cmp_eq_u32 s15, s25
	s_cselect_b32 s15, s19, s29
	s_cmp_lg_u32 s15, 0
	s_cselect_b32 s25, s28, s11
	s_cselect_b32 s24, s17, s3
	s_xor_b64 s[22:23], s[26:27], s[22:23]
	s_xor_b64 s[24:25], s[24:25], s[22:23]
	s_sub_u32 s22, s24, s22
	s_load_dword s3, s[4:5], 0x3c
	s_cbranch_execnz .LBB4_9
.LBB4_8:
	v_cvt_f32_u32_e32 v2, s2
	s_sub_i32 s11, 0, s2
	v_rcp_iflag_f32_e32 v2, v2
	v_mul_f32_e32 v2, 0x4f7ffffe, v2
	v_cvt_u32_f32_e32 v2, v2
	v_readfirstlane_b32 s15, v2
	s_mul_i32 s11, s11, s15
	s_mul_hi_u32 s11, s15, s11
	s_add_i32 s15, s15, s11
	s_mul_hi_u32 s11, s18, s15
	s_mul_i32 s17, s11, s2
	s_sub_i32 s17, s18, s17
	s_add_i32 s15, s11, 1
	s_sub_i32 s18, s17, s2
	s_cmp_ge_u32 s17, s2
	s_cselect_b32 s11, s15, s11
	s_cselect_b32 s17, s18, s17
	s_add_i32 s15, s11, 1
	s_cmp_ge_u32 s17, s2
	s_cselect_b32 s22, s15, s11
.LBB4_9:
	s_waitcnt lgkmcnt(0)
	s_lshr_b32 s2, s3, 16
	s_mul_i32 s7, s7, s2
	v_add_u32_e32 v15, s7, v1
	v_cmp_gt_i32_e32 vcc, s12, v15
	s_and_saveexec_b64 s[18:19], vcc
	s_cbranch_execz .LBB4_46
; %bb.10:
	s_mul_i32 s6, s6, s8
	s_add_i32 s6, s16, s6
	s_load_dword s45, s[4:5], 0x34
	s_load_dwordx4 s[16:19], s[4:5], 0x0
	s_mul_i32 s4, s8, s14
	s_add_i32 s5, s4, s6
	s_mul_i32 s4, s10, s9
	s_sub_i32 s11, s22, s6
	s_mul_i32 s6, s4, s5
	s_ashr_i32 s7, s6, 31
	s_add_i32 s11, s11, 1
	s_lshl_b64 s[6:7], s[6:7], 3
	s_waitcnt lgkmcnt(0)
	s_add_u32 s33, s16, s6
	s_mul_i32 s6, s13, s12
	s_addc_u32 s34, s17, s7
	s_mul_hi_i32 s5, s13, s12
	s_mul_i32 s1, s6, s1
	s_mul_hi_u32 s7, s6, s0
	s_add_i32 s1, s7, s1
	s_mul_i32 s5, s5, s0
	s_add_i32 s1, s1, s5
	s_mul_i32 s0, s6, s0
	s_ashr_i32 s35, s12, 31
	s_ashr_i32 s36, s13, 31
	s_lshl_b64 s[0:1], s[0:1], 3
	s_add_u32 s37, s18, s0
	s_addc_u32 s38, s19, s1
	s_and_b32 s39, s3, 0xffff
	s_ashr_i32 s40, s9, 31
	s_ashr_i32 s41, s10, 31
	s_cmp_gt_i32 s11, 0
	s_cselect_b64 s[6:7], -1, 0
	s_abs_i32 s42, s13
	v_cvt_f32_u32_e32 v1, s42
	s_ashr_i32 s47, s12, 31
	s_mul_i32 s45, s45, s2
	s_add_i32 s2, s12, s47
	s_xor_b32 s48, s2, s47
	s_mov_b32 s43, s12
	v_cvt_f32_u32_e32 v2, s48
	v_rcp_iflag_f32_e32 v1, v1
	v_cvt_f32_u32_e32 v3, s43
	s_sub_i32 s2, 0, s42
	v_rcp_iflag_f32_e32 v2, v2
	v_mul_f32_e32 v1, 0x4f7ffffe, v1
	v_rcp_iflag_f32_e32 v3, v3
	v_cvt_u32_f32_e32 v1, v1
	v_mul_f32_e32 v2, 0x4f7ffffe, v2
	v_cvt_u32_f32_e32 v2, v2
	v_mul_f32_e32 v3, 0x4f7ffffe, v3
	v_mul_lo_u32 v4, s2, v1
	v_cvt_u32_f32_e32 v3, v3
	s_sub_i32 s2, 0, s48
	v_mul_lo_u32 v7, s2, v2
	s_sub_i32 s2, 0, s12
	v_mul_hi_u32 v4, v1, v4
	v_mul_lo_u32 v8, s2, v3
	v_cvt_f64_i32_e32 v[5:6], s11
	s_ashr_i32 s5, s4, 31
	v_add_u32_e32 v16, v1, v4
	v_mul_hi_u32 v1, v2, v7
	v_mul_hi_u32 v4, v3, v8
	s_mov_b32 s44, s13
	s_mov_b32 s46, s9
	v_cmp_gt_i32_e64 s[0:1], s13, v0
	v_mov_b32_e32 v8, 0
	s_mov_b64 s[8:9], 0
	v_add_u32_e32 v17, v2, v1
	v_add_u32_e32 v18, v3, v4
	s_lshl_b64 s[14:15], s[4:5], 3
	s_ashr_i32 s16, s35, 31
	s_branch .LBB4_12
.LBB4_11:                               ;   in Loop: Header=BB4_12 Depth=1
	s_or_b64 exec, exec, s[18:19]
	v_add_u32_e32 v15, s45, v15
	v_cmp_le_i32_e32 vcc, s12, v15
	s_or_b64 s[8:9], vcc, s[8:9]
	s_andn2_b64 exec, exec, s[8:9]
	s_cbranch_execz .LBB4_46
.LBB4_12:                               ; =>This Loop Header: Depth=1
                                        ;     Child Loop BB4_27 Depth 2
                                        ;       Child Loop BB4_38 Depth 3
                                        ;         Child Loop BB4_41 Depth 4
                                        ;           Child Loop BB4_43 Depth 5
                                        ;             Child Loop BB4_44 Depth 6
	v_ashrrev_i32_e32 v4, 31, v15
	v_or_b32_e32 v2, s35, v4
	v_mov_b32_e32 v1, v8
	v_cmp_ne_u64_e32 vcc, 0, v[1:2]
                                        ; implicit-def: $vgpr1_vgpr2
	s_and_saveexec_b64 s[2:3], vcc
	s_xor_b64 s[2:3], exec, s[2:3]
	s_cbranch_execz .LBB4_14
; %bb.13:                               ;   in Loop: Header=BB4_12 Depth=1
	v_ashrrev_i32_e32 v1, 31, v15
	v_add_u32_e32 v2, v15, v1
	v_xor_b32_e32 v2, v2, v1
	v_mul_hi_u32 v3, v2, v17
	v_xor_b32_e32 v1, s47, v1
	v_mul_lo_u32 v7, v3, s48
	v_add_u32_e32 v9, 1, v3
	v_sub_u32_e32 v2, v2, v7
	v_subrev_u32_e32 v7, s48, v2
	v_cmp_le_u32_e32 vcc, s48, v2
	v_cndmask_b32_e32 v2, v2, v7, vcc
	v_cndmask_b32_e32 v3, v3, v9, vcc
	v_add_u32_e32 v7, 1, v3
	v_cmp_le_u32_e32 vcc, s48, v2
	v_cndmask_b32_e32 v2, v3, v7, vcc
	v_xor_b32_e32 v2, v2, v1
	v_sub_u32_e32 v1, v2, v1
	v_ashrrev_i32_e32 v2, 31, v1
.LBB4_14:                               ;   in Loop: Header=BB4_12 Depth=1
	s_andn2_saveexec_b64 s[2:3], s[2:3]
	s_cbranch_execz .LBB4_16
; %bb.15:                               ;   in Loop: Header=BB4_12 Depth=1
	v_mul_hi_u32 v1, v15, v18
	v_mul_lo_u32 v2, v1, s43
	v_add_u32_e32 v3, 1, v1
	v_sub_u32_e32 v2, v15, v2
	v_subrev_u32_e32 v7, s43, v2
	v_cmp_le_u32_e32 vcc, s43, v2
	v_cndmask_b32_e32 v2, v2, v7, vcc
	v_cndmask_b32_e32 v1, v1, v3, vcc
	v_add_u32_e32 v3, 1, v1
	v_cmp_le_u32_e32 vcc, s43, v2
	v_cndmask_b32_e32 v7, v1, v3, vcc
	v_mov_b32_e32 v1, v7
	v_mov_b32_e32 v2, v8
.LBB4_16:                               ;   in Loop: Header=BB4_12 Depth=1
	s_or_b64 exec, exec, s[2:3]
	v_mul_lo_u32 v7, v2, s43
	v_mul_lo_u32 v9, v1, s35
	v_mad_u64_u32 v[2:3], s[2:3], v1, s43, 0
	v_add3_u32 v3, v3, v9, v7
	v_sub_co_u32_e32 v2, vcc, v15, v2
	v_subb_co_u32_e32 v3, vcc, v4, v3, vcc
	v_mul_lo_u32 v3, v3, s46
	v_mul_lo_u32 v7, v2, s40
	v_mad_u64_u32 v[9:10], s[2:3], v2, s46, 0
	v_mov_b32_e32 v2, v8
	v_add3_u32 v10, v10, v7, v3
	v_or_b32_e32 v3, s35, v10
	v_cmp_ne_u64_e32 vcc, 0, v[2:3]
                                        ; implicit-def: $vgpr2_vgpr3
	s_and_saveexec_b64 s[2:3], vcc
	s_xor_b64 s[4:5], exec, s[2:3]
	s_cbranch_execz .LBB4_18
; %bb.17:                               ;   in Loop: Header=BB4_12 Depth=1
	s_add_u32 s2, s43, s16
	s_mov_b32 s17, s16
	s_addc_u32 s3, s35, s16
	s_xor_b64 s[18:19], s[2:3], s[16:17]
	v_cvt_f32_u32_e32 v2, s18
	v_cvt_f32_u32_e32 v3, s19
	s_sub_u32 s17, 0, s18
	s_subb_u32 s20, 0, s19
	v_ashrrev_i32_e32 v7, 31, v10
	v_mac_f32_e32 v2, 0x4f800000, v3
	v_rcp_f32_e32 v2, v2
	v_mul_f32_e32 v2, 0x5f7ffffc, v2
	v_mul_f32_e32 v3, 0x2f800000, v2
	v_trunc_f32_e32 v3, v3
	v_mac_f32_e32 v2, 0xcf800000, v3
	v_cvt_u32_f32_e32 v3, v3
	v_cvt_u32_f32_e32 v2, v2
	v_readfirstlane_b32 s21, v3
	v_readfirstlane_b32 s2, v2
	s_mul_i32 s3, s17, s21
	s_mul_hi_u32 s23, s17, s2
	s_mul_i32 s22, s20, s2
	s_add_i32 s3, s23, s3
	s_add_i32 s3, s3, s22
	s_mul_i32 s24, s17, s2
	s_mul_i32 s23, s2, s3
	s_mul_hi_u32 s25, s2, s24
	s_mul_hi_u32 s22, s2, s3
	s_add_u32 s23, s25, s23
	s_addc_u32 s22, 0, s22
	s_mul_hi_u32 s26, s21, s24
	s_mul_i32 s24, s21, s24
	s_add_u32 s23, s23, s24
	s_mul_hi_u32 s25, s21, s3
	s_addc_u32 s22, s22, s26
	s_addc_u32 s23, s25, 0
	s_mul_i32 s3, s21, s3
	s_add_u32 s3, s22, s3
	s_addc_u32 s22, 0, s23
	s_add_u32 s23, s2, s3
	s_cselect_b64 s[2:3], -1, 0
	s_cmp_lg_u64 s[2:3], 0
	s_addc_u32 s21, s21, s22
	s_mul_i32 s2, s17, s21
	s_mul_hi_u32 s3, s17, s23
	s_add_i32 s2, s3, s2
	s_mul_i32 s20, s20, s23
	s_add_i32 s2, s2, s20
	s_mul_i32 s17, s17, s23
	s_mul_hi_u32 s20, s21, s17
	s_mul_i32 s22, s21, s17
	s_mul_i32 s25, s23, s2
	s_mul_hi_u32 s17, s23, s17
	s_mul_hi_u32 s24, s23, s2
	s_add_u32 s17, s17, s25
	s_addc_u32 s24, 0, s24
	s_add_u32 s17, s17, s22
	s_mul_hi_u32 s3, s21, s2
	s_addc_u32 s17, s24, s20
	s_addc_u32 s3, s3, 0
	s_mul_i32 s2, s21, s2
	s_add_u32 s2, s17, s2
	s_addc_u32 s17, 0, s3
	s_add_u32 s20, s23, s2
	s_cselect_b64 s[2:3], -1, 0
	s_cmp_lg_u64 s[2:3], 0
	v_add_co_u32_e32 v2, vcc, v9, v7
	s_addc_u32 s17, s21, s17
	v_xor_b32_e32 v11, v2, v7
	v_addc_co_u32_e32 v9, vcc, v10, v7, vcc
	v_mad_u64_u32 v[2:3], s[2:3], v11, s17, 0
	v_mul_hi_u32 v10, v11, s20
	v_xor_b32_e32 v12, v9, v7
	v_add_co_u32_e32 v13, vcc, v10, v2
	v_addc_co_u32_e32 v14, vcc, 0, v3, vcc
	v_mad_u64_u32 v[2:3], s[2:3], v12, s20, 0
	v_mad_u64_u32 v[9:10], s[2:3], v12, s17, 0
	v_add_co_u32_e32 v2, vcc, v13, v2
	v_addc_co_u32_e32 v2, vcc, v14, v3, vcc
	v_addc_co_u32_e32 v3, vcc, 0, v10, vcc
	v_add_co_u32_e32 v9, vcc, v2, v9
	v_addc_co_u32_e32 v2, vcc, 0, v3, vcc
	v_mul_lo_u32 v10, s19, v9
	v_mul_lo_u32 v13, s18, v2
	v_mad_u64_u32 v[2:3], s[2:3], s18, v9, 0
	v_add3_u32 v3, v3, v13, v10
	v_sub_u32_e32 v10, v12, v3
	v_mov_b32_e32 v13, s19
	v_sub_co_u32_e32 v2, vcc, v11, v2
	v_subb_co_u32_e64 v10, s[2:3], v10, v13, vcc
	v_subrev_co_u32_e64 v11, s[2:3], s18, v2
	v_subbrev_co_u32_e64 v10, s[2:3], 0, v10, s[2:3]
	v_cmp_le_u32_e64 s[2:3], s19, v10
	v_subb_co_u32_e32 v3, vcc, v12, v3, vcc
	v_cndmask_b32_e64 v13, 0, -1, s[2:3]
	v_cmp_le_u32_e64 s[2:3], s18, v11
	v_cmp_le_u32_e32 vcc, s19, v3
	v_cndmask_b32_e64 v11, 0, -1, s[2:3]
	v_cmp_eq_u32_e64 s[2:3], s19, v10
	v_cndmask_b32_e64 v12, 0, -1, vcc
	v_cmp_le_u32_e32 vcc, s18, v2
	v_cndmask_b32_e64 v10, v13, v11, s[2:3]
	v_cndmask_b32_e64 v2, 0, -1, vcc
	v_cmp_eq_u32_e32 vcc, s19, v3
	v_add_co_u32_e64 v11, s[2:3], 2, v9
	v_add_co_u32_e64 v13, s[2:3], 1, v9
	v_cndmask_b32_e32 v2, v12, v2, vcc
	v_cmp_ne_u32_e32 vcc, 0, v10
	v_cndmask_b32_e32 v3, v13, v11, vcc
	v_cmp_ne_u32_e32 vcc, 0, v2
	v_cndmask_b32_e32 v2, v9, v3, vcc
	v_xor_b32_e32 v3, s16, v7
	v_xor_b32_e32 v2, v2, v3
	v_sub_co_u32_e32 v2, vcc, v2, v3
                                        ; implicit-def: $vgpr9_vgpr10
.LBB4_18:                               ;   in Loop: Header=BB4_12 Depth=1
	s_andn2_saveexec_b64 s[2:3], s[4:5]
	s_cbranch_execz .LBB4_20
; %bb.19:                               ;   in Loop: Header=BB4_12 Depth=1
	v_mul_hi_u32 v2, v9, v18
	v_mul_lo_u32 v3, v2, s43
	v_add_u32_e32 v7, 1, v2
	v_sub_u32_e32 v3, v9, v3
	v_subrev_u32_e32 v9, s43, v3
	v_cmp_le_u32_e32 vcc, s43, v3
	v_cndmask_b32_e32 v3, v3, v9, vcc
	v_cndmask_b32_e32 v2, v2, v7, vcc
	v_add_u32_e32 v7, 1, v2
	v_cmp_le_u32_e32 vcc, s43, v3
	v_cndmask_b32_e32 v2, v2, v7, vcc
.LBB4_20:                               ;   in Loop: Header=BB4_12 Depth=1
	s_or_b64 exec, exec, s[2:3]
	v_add_co_u32_e32 v3, vcc, 1, v15
	v_addc_co_u32_e32 v4, vcc, 0, v4, vcc
	v_mul_lo_u32 v7, v3, s40
	v_mul_lo_u32 v9, v4, s46
	v_mad_u64_u32 v[3:4], s[2:3], v3, s46, -1
	v_add3_u32 v4, v9, v4, v7
	v_or_b32_e32 v10, s35, v4
	v_mov_b32_e32 v9, v8
	v_cmp_ne_u64_e32 vcc, 0, v[9:10]
                                        ; implicit-def: $vgpr9_vgpr10
	s_and_saveexec_b64 s[2:3], vcc
	s_xor_b64 s[4:5], exec, s[2:3]
	s_cbranch_execnz .LBB4_23
; %bb.21:                               ;   in Loop: Header=BB4_12 Depth=1
	s_andn2_saveexec_b64 s[2:3], s[4:5]
	s_cbranch_execnz .LBB4_24
.LBB4_22:                               ;   in Loop: Header=BB4_12 Depth=1
	s_or_b64 exec, exec, s[2:3]
	s_and_saveexec_b64 s[18:19], s[0:1]
	s_cbranch_execz .LBB4_11
	s_branch .LBB4_25
.LBB4_23:                               ;   in Loop: Header=BB4_12 Depth=1
	s_add_u32 s2, s43, s16
	s_mov_b32 s17, s16
	s_addc_u32 s3, s35, s16
	s_xor_b64 s[18:19], s[2:3], s[16:17]
	v_cvt_f32_u32_e32 v7, s18
	v_cvt_f32_u32_e32 v9, s19
	s_sub_u32 s17, 0, s18
	s_subb_u32 s20, 0, s19
	v_mac_f32_e32 v7, 0x4f800000, v9
	v_rcp_f32_e32 v7, v7
	v_mul_f32_e32 v7, 0x5f7ffffc, v7
	v_mul_f32_e32 v9, 0x2f800000, v7
	v_trunc_f32_e32 v9, v9
	v_mac_f32_e32 v7, 0xcf800000, v9
	v_cvt_u32_f32_e32 v9, v9
	v_cvt_u32_f32_e32 v7, v7
	v_readfirstlane_b32 s21, v9
	v_readfirstlane_b32 s2, v7
	s_mul_i32 s3, s17, s21
	s_mul_hi_u32 s23, s17, s2
	s_mul_i32 s22, s20, s2
	s_add_i32 s3, s23, s3
	s_add_i32 s3, s3, s22
	s_mul_i32 s24, s17, s2
	s_mul_i32 s23, s2, s3
	s_mul_hi_u32 s25, s2, s24
	s_mul_hi_u32 s22, s2, s3
	s_add_u32 s23, s25, s23
	s_addc_u32 s22, 0, s22
	s_mul_hi_u32 s26, s21, s24
	s_mul_i32 s24, s21, s24
	s_add_u32 s23, s23, s24
	s_mul_hi_u32 s25, s21, s3
	s_addc_u32 s22, s22, s26
	s_addc_u32 s23, s25, 0
	s_mul_i32 s3, s21, s3
	s_add_u32 s3, s22, s3
	s_addc_u32 s22, 0, s23
	s_add_u32 s23, s2, s3
	s_cselect_b64 s[2:3], -1, 0
	s_cmp_lg_u64 s[2:3], 0
	s_addc_u32 s21, s21, s22
	s_mul_i32 s2, s17, s21
	s_mul_hi_u32 s3, s17, s23
	s_add_i32 s2, s3, s2
	s_mul_i32 s20, s20, s23
	s_add_i32 s2, s2, s20
	s_mul_i32 s17, s17, s23
	s_mul_hi_u32 s20, s21, s17
	s_mul_i32 s22, s21, s17
	s_mul_i32 s25, s23, s2
	s_mul_hi_u32 s17, s23, s17
	s_mul_hi_u32 s24, s23, s2
	s_add_u32 s17, s17, s25
	s_addc_u32 s24, 0, s24
	s_add_u32 s17, s17, s22
	s_mul_hi_u32 s3, s21, s2
	s_addc_u32 s17, s24, s20
	s_addc_u32 s3, s3, 0
	s_mul_i32 s2, s21, s2
	s_add_u32 s2, s17, s2
	s_addc_u32 s17, 0, s3
	s_add_u32 s20, s23, s2
	s_cselect_b64 s[2:3], -1, 0
	v_ashrrev_i32_e32 v7, 31, v4
	s_cmp_lg_u64 s[2:3], 0
	v_add_co_u32_e32 v3, vcc, v3, v7
	s_addc_u32 s17, s21, s17
	v_xor_b32_e32 v11, v3, v7
	v_addc_co_u32_e32 v9, vcc, v4, v7, vcc
	v_mad_u64_u32 v[3:4], s[2:3], v11, s17, 0
	v_mul_hi_u32 v10, v11, s20
	v_xor_b32_e32 v12, v9, v7
	v_add_co_u32_e32 v13, vcc, v10, v3
	v_addc_co_u32_e32 v14, vcc, 0, v4, vcc
	v_mad_u64_u32 v[3:4], s[2:3], v12, s20, 0
	v_mad_u64_u32 v[9:10], s[2:3], v12, s17, 0
	v_add_co_u32_e32 v3, vcc, v13, v3
	v_addc_co_u32_e32 v3, vcc, v14, v4, vcc
	v_addc_co_u32_e32 v4, vcc, 0, v10, vcc
	v_add_co_u32_e32 v9, vcc, v3, v9
	v_addc_co_u32_e32 v3, vcc, 0, v4, vcc
	v_mul_lo_u32 v10, s19, v9
	v_mul_lo_u32 v13, s18, v3
	v_mad_u64_u32 v[3:4], s[2:3], s18, v9, 0
	v_add3_u32 v4, v4, v13, v10
	v_sub_u32_e32 v10, v12, v4
	v_mov_b32_e32 v13, s19
	v_sub_co_u32_e32 v3, vcc, v11, v3
	v_subb_co_u32_e64 v10, s[2:3], v10, v13, vcc
	v_subrev_co_u32_e64 v11, s[2:3], s18, v3
	v_subbrev_co_u32_e64 v10, s[2:3], 0, v10, s[2:3]
	v_cmp_le_u32_e64 s[2:3], s19, v10
	v_subb_co_u32_e32 v4, vcc, v12, v4, vcc
	v_cndmask_b32_e64 v13, 0, -1, s[2:3]
	v_cmp_le_u32_e64 s[2:3], s18, v11
	v_cmp_le_u32_e32 vcc, s19, v4
	v_cndmask_b32_e64 v11, 0, -1, s[2:3]
	v_cmp_eq_u32_e64 s[2:3], s19, v10
	v_cndmask_b32_e64 v12, 0, -1, vcc
	v_cmp_le_u32_e32 vcc, s18, v3
	v_cndmask_b32_e64 v10, v13, v11, s[2:3]
	v_cndmask_b32_e64 v3, 0, -1, vcc
	v_cmp_eq_u32_e32 vcc, s19, v4
	v_add_co_u32_e64 v11, s[2:3], 2, v9
	v_add_co_u32_e64 v13, s[2:3], 1, v9
	v_cndmask_b32_e32 v3, v12, v3, vcc
	v_cmp_ne_u32_e32 vcc, 0, v10
	v_cndmask_b32_e32 v4, v13, v11, vcc
	v_cmp_ne_u32_e32 vcc, 0, v3
	v_cndmask_b32_e32 v3, v9, v4, vcc
	v_xor_b32_e32 v4, s16, v7
	v_xor_b32_e32 v3, v3, v4
	v_sub_co_u32_e32 v9, vcc, v3, v4
                                        ; implicit-def: $vgpr3_vgpr4
	s_andn2_saveexec_b64 s[2:3], s[4:5]
	s_cbranch_execz .LBB4_22
.LBB4_24:                               ;   in Loop: Header=BB4_12 Depth=1
	v_mul_hi_u32 v4, v3, v18
	v_mul_lo_u32 v7, v4, s43
	v_add_u32_e32 v9, 1, v4
	v_sub_u32_e32 v3, v3, v7
	v_subrev_u32_e32 v7, s43, v3
	v_cmp_le_u32_e32 vcc, s43, v3
	v_cndmask_b32_e32 v3, v3, v7, vcc
	v_cndmask_b32_e32 v4, v4, v9, vcc
	v_add_u32_e32 v7, 1, v4
	v_cmp_le_u32_e32 vcc, s43, v3
	v_cndmask_b32_e32 v9, v4, v7, vcc
	s_or_b64 exec, exec, s[2:3]
	s_and_saveexec_b64 s[18:19], s[0:1]
	s_cbranch_execz .LBB4_11
.LBB4_25:                               ;   in Loop: Header=BB4_12 Depth=1
	v_mad_u64_u32 v[1:2], s[2:3], v1, s46, v[2:3]
	v_mul_lo_u32 v10, v15, s13
	v_mov_b32_e32 v4, s34
	v_mul_lo_u32 v2, s10, v1
	v_sub_u32_e32 v1, v9, v1
	v_add_u32_e32 v19, 1, v1
	v_ashrrev_i32_e32 v11, 31, v10
	v_ashrrev_i32_e32 v3, 31, v2
	v_lshlrev_b64 v[1:2], 3, v[2:3]
	v_mov_b32_e32 v3, s38
	v_add_co_u32_e32 v20, vcc, s33, v1
	v_addc_co_u32_e32 v21, vcc, v4, v2, vcc
	v_lshlrev_b64 v[1:2], 3, v[10:11]
	v_cvt_f64_i32_e32 v[9:10], v19
	v_add_co_u32_e32 v22, vcc, s37, v1
	v_addc_co_u32_e32 v23, vcc, v3, v2, vcc
	v_cmp_lt_i32_e64 s[2:3], 0, v19
	s_mov_b64 s[20:21], 0
	v_mov_b32_e32 v7, v0
	s_branch .LBB4_27
.LBB4_26:                               ;   in Loop: Header=BB4_27 Depth=2
	v_add_u32_e32 v7, s39, v7
	v_cmp_le_i32_e32 vcc, s13, v7
	s_or_b64 s[20:21], vcc, s[20:21]
	s_andn2_b64 exec, exec, s[20:21]
	s_cbranch_execz .LBB4_11
.LBB4_27:                               ;   Parent Loop BB4_12 Depth=1
                                        ; =>  This Loop Header: Depth=2
                                        ;       Child Loop BB4_38 Depth 3
                                        ;         Child Loop BB4_41 Depth 4
                                        ;           Child Loop BB4_43 Depth 5
                                        ;             Child Loop BB4_44 Depth 6
	v_mul_hi_u32 v1, v7, v16
	v_mul_lo_u32 v2, v1, s42
	v_add_u32_e32 v3, 1, v1
	v_sub_u32_e32 v2, v7, v2
	v_cmp_le_u32_e32 vcc, s42, v2
	v_cndmask_b32_e32 v1, v1, v3, vcc
	v_subrev_u32_e32 v3, s42, v2
	v_cndmask_b32_e32 v2, v2, v3, vcc
	v_add_u32_e32 v3, 1, v1
	v_cmp_le_u32_e32 vcc, s42, v2
	v_cndmask_b32_e32 v1, v1, v3, vcc
	v_xor_b32_e32 v1, s36, v1
	v_subrev_u32_e32 v13, s36, v1
	v_mad_i64_i32 v[1:2], s[4:5], v13, s44, 0
	v_sub_co_u32_e32 v1, vcc, v7, v1
	v_subb_co_u32_e32 v2, vcc, 0, v2, vcc
	v_mul_lo_u32 v2, v2, s10
	v_mul_lo_u32 v11, v1, s41
	v_mad_u64_u32 v[3:4], s[4:5], v1, s10, 0
	v_mov_b32_e32 v1, v8
	v_add3_u32 v4, v4, v11, v2
	v_or_b32_e32 v2, s36, v4
	v_cmp_ne_u64_e32 vcc, 0, v[1:2]
                                        ; implicit-def: $vgpr1_vgpr2
	s_and_saveexec_b64 s[4:5], vcc
	s_xor_b64 s[22:23], exec, s[4:5]
	s_cbranch_execz .LBB4_29
; %bb.28:                               ;   in Loop: Header=BB4_27 Depth=2
	s_ashr_i32 s24, s36, 31
	s_add_u32 s4, s44, s24
	s_mov_b32 s25, s24
	s_addc_u32 s5, s36, s24
	s_xor_b64 s[26:27], s[4:5], s[24:25]
	v_cvt_f32_u32_e32 v1, s26
	v_cvt_f32_u32_e32 v2, s27
	s_sub_u32 s17, 0, s26
	s_subb_u32 s25, 0, s27
	v_ashrrev_i32_e32 v11, 31, v4
	v_mac_f32_e32 v1, 0x4f800000, v2
	v_rcp_f32_e32 v1, v1
	v_mul_f32_e32 v1, 0x5f7ffffc, v1
	v_mul_f32_e32 v2, 0x2f800000, v1
	v_trunc_f32_e32 v2, v2
	v_mac_f32_e32 v1, 0xcf800000, v2
	v_cvt_u32_f32_e32 v2, v2
	v_cvt_u32_f32_e32 v1, v1
	v_readfirstlane_b32 s28, v2
	v_readfirstlane_b32 s4, v1
	s_mul_i32 s5, s17, s28
	s_mul_hi_u32 s30, s17, s4
	s_mul_i32 s29, s25, s4
	s_add_i32 s5, s30, s5
	s_add_i32 s5, s5, s29
	s_mul_i32 s31, s17, s4
	s_mul_i32 s30, s4, s5
	s_mul_hi_u32 s49, s4, s31
	s_mul_hi_u32 s29, s4, s5
	s_add_u32 s30, s49, s30
	s_addc_u32 s29, 0, s29
	s_mul_hi_u32 s50, s28, s31
	s_mul_i32 s31, s28, s31
	s_add_u32 s30, s30, s31
	s_mul_hi_u32 s49, s28, s5
	s_addc_u32 s29, s29, s50
	s_addc_u32 s30, s49, 0
	s_mul_i32 s5, s28, s5
	s_add_u32 s5, s29, s5
	s_addc_u32 s29, 0, s30
	s_add_u32 s30, s4, s5
	s_cselect_b64 s[4:5], -1, 0
	s_cmp_lg_u64 s[4:5], 0
	s_addc_u32 s28, s28, s29
	s_mul_i32 s4, s17, s28
	s_mul_hi_u32 s5, s17, s30
	s_add_i32 s4, s5, s4
	s_mul_i32 s25, s25, s30
	s_add_i32 s4, s4, s25
	s_mul_i32 s17, s17, s30
	s_mul_hi_u32 s25, s28, s17
	s_mul_i32 s29, s28, s17
	s_mul_i32 s49, s30, s4
	s_mul_hi_u32 s17, s30, s17
	s_mul_hi_u32 s31, s30, s4
	s_add_u32 s17, s17, s49
	s_addc_u32 s31, 0, s31
	s_add_u32 s17, s17, s29
	s_mul_hi_u32 s5, s28, s4
	s_addc_u32 s17, s31, s25
	s_addc_u32 s5, s5, 0
	s_mul_i32 s4, s28, s4
	s_add_u32 s4, s17, s4
	s_addc_u32 s17, 0, s5
	s_add_u32 s25, s30, s4
	s_cselect_b64 s[4:5], -1, 0
	s_cmp_lg_u64 s[4:5], 0
	v_add_co_u32_e32 v1, vcc, v3, v11
	s_addc_u32 s17, s28, s17
	v_xor_b32_e32 v12, v1, v11
	v_addc_co_u32_e32 v3, vcc, v4, v11, vcc
	v_mad_u64_u32 v[1:2], s[4:5], v12, s17, 0
	v_mul_hi_u32 v4, v12, s25
	v_xor_b32_e32 v14, v3, v11
	v_add_co_u32_e32 v24, vcc, v4, v1
	v_addc_co_u32_e32 v25, vcc, 0, v2, vcc
	v_mad_u64_u32 v[1:2], s[4:5], v14, s25, 0
	v_mad_u64_u32 v[3:4], s[4:5], v14, s17, 0
	v_add_co_u32_e32 v1, vcc, v24, v1
	v_addc_co_u32_e32 v1, vcc, v25, v2, vcc
	v_addc_co_u32_e32 v2, vcc, 0, v4, vcc
	v_add_co_u32_e32 v3, vcc, v1, v3
	v_addc_co_u32_e32 v4, vcc, 0, v2, vcc
	v_mul_lo_u32 v24, s27, v3
	v_mul_lo_u32 v25, s26, v4
	v_mad_u64_u32 v[1:2], s[4:5], s26, v3, 0
	v_add3_u32 v2, v2, v25, v24
	v_sub_u32_e32 v24, v14, v2
	v_mov_b32_e32 v25, s27
	v_sub_co_u32_e32 v1, vcc, v12, v1
	v_subb_co_u32_e64 v12, s[4:5], v24, v25, vcc
	v_subrev_co_u32_e64 v24, s[4:5], s26, v1
	v_subbrev_co_u32_e64 v12, s[4:5], 0, v12, s[4:5]
	v_cmp_le_u32_e64 s[4:5], s27, v12
	v_cndmask_b32_e64 v25, 0, -1, s[4:5]
	v_cmp_le_u32_e64 s[4:5], s26, v24
	v_cndmask_b32_e64 v24, 0, -1, s[4:5]
	v_cmp_eq_u32_e64 s[4:5], s27, v12
	v_cndmask_b32_e64 v12, v25, v24, s[4:5]
	v_add_co_u32_e64 v24, s[4:5], 2, v3
	v_subb_co_u32_e32 v2, vcc, v14, v2, vcc
	v_addc_co_u32_e64 v25, s[4:5], 0, v4, s[4:5]
	v_cmp_le_u32_e32 vcc, s27, v2
	v_add_co_u32_e64 v26, s[4:5], 1, v3
	v_cndmask_b32_e64 v14, 0, -1, vcc
	v_cmp_le_u32_e32 vcc, s26, v1
	v_addc_co_u32_e64 v27, s[4:5], 0, v4, s[4:5]
	v_cndmask_b32_e64 v1, 0, -1, vcc
	v_cmp_eq_u32_e32 vcc, s27, v2
	v_cmp_ne_u32_e64 s[4:5], 0, v12
	v_cndmask_b32_e32 v1, v14, v1, vcc
	v_cndmask_b32_e64 v12, v27, v25, s[4:5]
	v_cmp_ne_u32_e32 vcc, 0, v1
	v_cndmask_b32_e64 v2, v26, v24, s[4:5]
	v_cndmask_b32_e32 v1, v4, v12, vcc
	v_cndmask_b32_e32 v2, v3, v2, vcc
	v_xor_b32_e32 v3, s24, v11
	v_xor_b32_e32 v4, v1, v3
	;; [unrolled: 1-line block ×3, first 2 shown]
	v_sub_co_u32_e32 v1, vcc, v1, v3
	v_subb_co_u32_e32 v2, vcc, v4, v3, vcc
                                        ; implicit-def: $vgpr3_vgpr4
.LBB4_29:                               ;   in Loop: Header=BB4_27 Depth=2
	s_andn2_saveexec_b64 s[4:5], s[22:23]
	s_cbranch_execz .LBB4_31
; %bb.30:                               ;   in Loop: Header=BB4_27 Depth=2
	v_cvt_f32_u32_e32 v1, s44
	s_sub_i32 s17, 0, s44
	v_rcp_iflag_f32_e32 v1, v1
	v_mul_f32_e32 v1, 0x4f7ffffe, v1
	v_cvt_u32_f32_e32 v1, v1
	v_mul_lo_u32 v2, s17, v1
	v_mul_hi_u32 v2, v1, v2
	v_add_u32_e32 v1, v1, v2
	v_mul_hi_u32 v1, v3, v1
	v_mul_lo_u32 v2, v1, s44
	v_add_u32_e32 v4, 1, v1
	v_sub_u32_e32 v2, v3, v2
	v_subrev_u32_e32 v3, s44, v2
	v_cmp_le_u32_e32 vcc, s44, v2
	v_cndmask_b32_e32 v2, v2, v3, vcc
	v_cndmask_b32_e32 v1, v1, v4, vcc
	v_add_u32_e32 v3, 1, v1
	v_cmp_le_u32_e32 vcc, s44, v2
	v_cndmask_b32_e32 v1, v1, v3, vcc
	v_mov_b32_e32 v2, v8
.LBB4_31:                               ;   in Loop: Header=BB4_27 Depth=2
	s_or_b64 exec, exec, s[4:5]
	v_add_u32_e32 v11, 1, v7
	v_mad_u64_u32 v[3:4], s[4:5], v11, s10, -1
	v_mov_b32_e32 v24, v8
	v_mad_u64_u32 v[11:12], s[4:5], v11, s41, v[4:5]
	v_or_b32_e32 v25, s36, v11
	v_cmp_ne_u64_e32 vcc, 0, v[24:25]
	v_mov_b32_e32 v4, v11
                                        ; implicit-def: $vgpr11_vgpr12
	s_and_saveexec_b64 s[4:5], vcc
	s_xor_b64 s[22:23], exec, s[4:5]
	s_cbranch_execnz .LBB4_34
; %bb.32:                               ;   in Loop: Header=BB4_27 Depth=2
	s_andn2_saveexec_b64 s[4:5], s[22:23]
	s_cbranch_execnz .LBB4_35
.LBB4_33:                               ;   in Loop: Header=BB4_27 Depth=2
	s_or_b64 exec, exec, s[4:5]
	s_andn2_b64 vcc, exec, s[6:7]
	s_cbranch_vccz .LBB4_36
	s_branch .LBB4_26
.LBB4_34:                               ;   in Loop: Header=BB4_27 Depth=2
	s_ashr_i32 s24, s36, 31
	s_add_u32 s4, s44, s24
	s_mov_b32 s25, s24
	s_addc_u32 s5, s36, s24
	s_xor_b64 s[26:27], s[4:5], s[24:25]
	v_cvt_f32_u32_e32 v11, s26
	v_cvt_f32_u32_e32 v12, s27
	s_sub_u32 s17, 0, s26
	s_subb_u32 s25, 0, s27
	v_ashrrev_i32_e32 v14, 31, v4
	v_mac_f32_e32 v11, 0x4f800000, v12
	v_rcp_f32_e32 v11, v11
	v_add_co_u32_e32 v3, vcc, v3, v14
	v_xor_b32_e32 v24, v3, v14
	v_mul_f32_e32 v11, 0x5f7ffffc, v11
	v_mul_f32_e32 v12, 0x2f800000, v11
	v_trunc_f32_e32 v12, v12
	v_mac_f32_e32 v11, 0xcf800000, v12
	v_cvt_u32_f32_e32 v12, v12
	v_cvt_u32_f32_e32 v11, v11
	v_readfirstlane_b32 s28, v12
	v_readfirstlane_b32 s4, v11
	s_mul_i32 s5, s17, s28
	s_mul_hi_u32 s30, s17, s4
	s_mul_i32 s29, s25, s4
	s_add_i32 s5, s30, s5
	s_add_i32 s5, s5, s29
	s_mul_i32 s31, s17, s4
	s_mul_i32 s30, s4, s5
	s_mul_hi_u32 s49, s4, s31
	s_mul_hi_u32 s29, s4, s5
	s_add_u32 s30, s49, s30
	s_addc_u32 s29, 0, s29
	s_mul_hi_u32 s50, s28, s31
	s_mul_i32 s31, s28, s31
	s_add_u32 s30, s30, s31
	s_mul_hi_u32 s49, s28, s5
	s_addc_u32 s29, s29, s50
	s_addc_u32 s30, s49, 0
	s_mul_i32 s5, s28, s5
	s_add_u32 s5, s29, s5
	s_addc_u32 s29, 0, s30
	s_add_u32 s30, s4, s5
	s_cselect_b64 s[4:5], -1, 0
	s_cmp_lg_u64 s[4:5], 0
	s_addc_u32 s28, s28, s29
	s_mul_i32 s4, s17, s28
	s_mul_hi_u32 s5, s17, s30
	s_add_i32 s4, s5, s4
	s_mul_i32 s25, s25, s30
	s_add_i32 s4, s4, s25
	s_mul_i32 s17, s17, s30
	s_mul_hi_u32 s25, s28, s17
	s_mul_i32 s29, s28, s17
	s_mul_i32 s49, s30, s4
	s_mul_hi_u32 s17, s30, s17
	s_mul_hi_u32 s31, s30, s4
	s_add_u32 s17, s17, s49
	s_addc_u32 s31, 0, s31
	s_add_u32 s17, s17, s29
	s_mul_hi_u32 s5, s28, s4
	s_addc_u32 s17, s31, s25
	s_addc_u32 s5, s5, 0
	s_mul_i32 s4, s28, s4
	s_add_u32 s4, s17, s4
	s_addc_u32 s17, 0, s5
	s_add_u32 s25, s30, s4
	s_cselect_b64 s[4:5], -1, 0
	s_cmp_lg_u64 s[4:5], 0
	s_addc_u32 s17, s28, s17
	v_addc_co_u32_e32 v11, vcc, v4, v14, vcc
	v_mad_u64_u32 v[3:4], s[4:5], v24, s17, 0
	v_mul_hi_u32 v12, v24, s25
	v_xor_b32_e32 v25, v11, v14
	v_add_co_u32_e32 v26, vcc, v12, v3
	v_addc_co_u32_e32 v27, vcc, 0, v4, vcc
	v_mad_u64_u32 v[3:4], s[4:5], v25, s25, 0
	v_mad_u64_u32 v[11:12], s[4:5], v25, s17, 0
	v_add_co_u32_e32 v3, vcc, v26, v3
	v_addc_co_u32_e32 v3, vcc, v27, v4, vcc
	v_addc_co_u32_e32 v4, vcc, 0, v12, vcc
	v_add_co_u32_e32 v11, vcc, v3, v11
	v_addc_co_u32_e32 v3, vcc, 0, v4, vcc
	v_mul_lo_u32 v12, s27, v11
	v_mul_lo_u32 v26, s26, v3
	v_mad_u64_u32 v[3:4], s[4:5], s26, v11, 0
	v_add3_u32 v4, v4, v26, v12
	v_sub_u32_e32 v12, v25, v4
	v_mov_b32_e32 v26, s27
	v_sub_co_u32_e32 v3, vcc, v24, v3
	v_subb_co_u32_e64 v12, s[4:5], v12, v26, vcc
	v_subrev_co_u32_e64 v24, s[4:5], s26, v3
	v_subbrev_co_u32_e64 v12, s[4:5], 0, v12, s[4:5]
	v_cmp_le_u32_e64 s[4:5], s27, v12
	v_subb_co_u32_e32 v4, vcc, v25, v4, vcc
	v_cndmask_b32_e64 v26, 0, -1, s[4:5]
	v_cmp_le_u32_e64 s[4:5], s26, v24
	v_cmp_le_u32_e32 vcc, s27, v4
	v_cndmask_b32_e64 v24, 0, -1, s[4:5]
	v_cmp_eq_u32_e64 s[4:5], s27, v12
	v_cndmask_b32_e64 v25, 0, -1, vcc
	v_cmp_le_u32_e32 vcc, s26, v3
	v_cndmask_b32_e64 v12, v26, v24, s[4:5]
	v_cndmask_b32_e64 v3, 0, -1, vcc
	v_cmp_eq_u32_e32 vcc, s27, v4
	v_add_co_u32_e64 v24, s[4:5], 2, v11
	v_add_co_u32_e64 v26, s[4:5], 1, v11
	v_cndmask_b32_e32 v3, v25, v3, vcc
	v_cmp_ne_u32_e32 vcc, 0, v12
	v_cndmask_b32_e32 v4, v26, v24, vcc
	v_cmp_ne_u32_e32 vcc, 0, v3
	v_cndmask_b32_e32 v3, v11, v4, vcc
	v_xor_b32_e32 v4, s24, v14
	v_xor_b32_e32 v3, v3, v4
	v_sub_co_u32_e32 v11, vcc, v3, v4
                                        ; implicit-def: $vgpr3_vgpr4
	s_andn2_saveexec_b64 s[4:5], s[22:23]
	s_cbranch_execz .LBB4_33
.LBB4_35:                               ;   in Loop: Header=BB4_27 Depth=2
	v_cvt_f32_u32_e32 v4, s44
	s_sub_i32 s17, 0, s44
	v_rcp_iflag_f32_e32 v4, v4
	v_mul_f32_e32 v4, 0x4f7ffffe, v4
	v_cvt_u32_f32_e32 v4, v4
	v_mul_lo_u32 v11, s17, v4
	v_mul_hi_u32 v11, v4, v11
	v_add_u32_e32 v4, v4, v11
	v_mul_hi_u32 v4, v3, v4
	v_mul_lo_u32 v11, v4, s44
	v_add_u32_e32 v12, 1, v4
	v_sub_u32_e32 v3, v3, v11
	v_subrev_u32_e32 v11, s44, v3
	v_cmp_le_u32_e32 vcc, s44, v3
	v_cndmask_b32_e32 v3, v3, v11, vcc
	v_cndmask_b32_e32 v4, v4, v12, vcc
	v_add_u32_e32 v11, 1, v4
	v_cmp_le_u32_e32 vcc, s44, v3
	v_cndmask_b32_e32 v11, v4, v11, vcc
	s_or_b64 exec, exec, s[4:5]
	s_andn2_b64 vcc, exec, s[6:7]
	s_cbranch_vccnz .LBB4_26
.LBB4_36:                               ;   in Loop: Header=BB4_27 Depth=2
	v_lshlrev_b64 v[3:4], 3, v[7:8]
	v_mad_i64_i32 v[1:2], s[4:5], v13, s10, v[1:2]
	v_add_co_u32_e32 v3, vcc, v22, v3
	v_addc_co_u32_e32 v4, vcc, v23, v4, vcc
	global_load_dwordx2 v[3:4], v[3:4], off
	s_mov_b32 s17, 0
	s_waitcnt vmcnt(0)
	v_div_scale_f64 v[24:25], s[4:5], v[5:6], v[5:6], v[3:4]
	v_rcp_f64_e32 v[26:27], v[24:25]
	v_fma_f64 v[28:29], -v[24:25], v[26:27], 1.0
	v_fma_f64 v[26:27], v[26:27], v[28:29], v[26:27]
	v_div_scale_f64 v[28:29], vcc, v[3:4], v[5:6], v[3:4]
	v_fma_f64 v[30:31], -v[24:25], v[26:27], 1.0
	v_fma_f64 v[26:27], v[26:27], v[30:31], v[26:27]
	v_mul_f64 v[30:31], v[28:29], v[26:27]
	v_fma_f64 v[24:25], -v[24:25], v[30:31], v[28:29]
	v_div_fmas_f64 v[24:25], v[24:25], v[26:27], v[30:31]
	v_div_fixup_f64 v[3:4], v[24:25], v[5:6], v[3:4]
	v_div_scale_f64 v[24:25], s[4:5], v[9:10], v[9:10], v[3:4]
	v_rcp_f64_e32 v[26:27], v[24:25]
	v_fma_f64 v[28:29], -v[24:25], v[26:27], 1.0
	v_fma_f64 v[26:27], v[26:27], v[28:29], v[26:27]
	v_div_scale_f64 v[28:29], vcc, v[3:4], v[9:10], v[3:4]
	v_fma_f64 v[30:31], -v[24:25], v[26:27], 1.0
	v_fma_f64 v[26:27], v[26:27], v[30:31], v[26:27]
	v_mul_f64 v[30:31], v[28:29], v[26:27]
	v_fma_f64 v[24:25], -v[24:25], v[30:31], v[28:29]
	v_div_fmas_f64 v[24:25], v[24:25], v[26:27], v[30:31]
	v_div_fixup_f64 v[2:3], v[24:25], v[9:10], v[3:4]
	v_sub_u32_e32 v4, v11, v1
	v_add_u32_e32 v24, 1, v4
	v_cvt_f64_i32_e32 v[11:12], v24
	v_div_scale_f64 v[13:14], s[4:5], v[11:12], v[11:12], v[2:3]
	v_rcp_f64_e32 v[25:26], v[13:14]
	v_fma_f64 v[27:28], -v[13:14], v[25:26], 1.0
	v_fma_f64 v[25:26], v[25:26], v[27:28], v[25:26]
	v_div_scale_f64 v[27:28], vcc, v[2:3], v[11:12], v[2:3]
	v_fma_f64 v[29:30], -v[13:14], v[25:26], 1.0
	v_fma_f64 v[25:26], v[25:26], v[29:30], v[25:26]
	v_mul_f64 v[29:30], v[27:28], v[25:26]
	v_fma_f64 v[13:14], -v[13:14], v[29:30], v[27:28]
	v_div_fmas_f64 v[13:14], v[13:14], v[25:26], v[29:30]
	v_div_fixup_f64 v[11:12], v[13:14], v[11:12], v[2:3]
	v_mov_b32_e32 v2, v8
	v_mov_b32_e32 v3, v1
	v_ashrrev_i64 v[1:2], 29, v[2:3]
	v_add_co_u32_e32 v25, vcc, v20, v1
	v_addc_co_u32_e32 v26, vcc, v21, v2, vcc
	v_cmp_lt_i32_e32 vcc, 0, v24
	s_branch .LBB4_38
.LBB4_37:                               ;   in Loop: Header=BB4_38 Depth=3
	s_or_b64 exec, exec, s[22:23]
	v_mov_b32_e32 v1, s15
	s_add_i32 s17, s17, 1
	v_add_co_u32_e64 v25, s[4:5], s14, v25
	s_cmp_lt_i32 s17, s11
	v_addc_co_u32_e64 v26, s[4:5], v26, v1, s[4:5]
	s_cbranch_scc0 .LBB4_26
.LBB4_38:                               ;   Parent Loop BB4_12 Depth=1
                                        ;     Parent Loop BB4_27 Depth=2
                                        ; =>    This Loop Header: Depth=3
                                        ;         Child Loop BB4_41 Depth 4
                                        ;           Child Loop BB4_43 Depth 5
                                        ;             Child Loop BB4_44 Depth 6
	s_and_saveexec_b64 s[22:23], s[2:3]
	s_cbranch_execz .LBB4_37
; %bb.39:                               ;   in Loop: Header=BB4_38 Depth=3
	s_mov_b32 s49, 0
	s_mov_b64 s[24:25], 0
	s_branch .LBB4_41
.LBB4_40:                               ;   in Loop: Header=BB4_41 Depth=4
	s_or_b64 exec, exec, s[26:27]
	s_add_i32 s49, s49, 1
	v_cmp_ge_i32_e64 s[4:5], s49, v19
	s_or_b64 s[24:25], s[4:5], s[24:25]
	s_andn2_b64 exec, exec, s[24:25]
	s_cbranch_execz .LBB4_37
.LBB4_41:                               ;   Parent Loop BB4_12 Depth=1
                                        ;     Parent Loop BB4_27 Depth=2
                                        ;       Parent Loop BB4_38 Depth=3
                                        ; =>      This Loop Header: Depth=4
                                        ;           Child Loop BB4_43 Depth 5
                                        ;             Child Loop BB4_44 Depth 6
	s_and_saveexec_b64 s[26:27], vcc
	s_cbranch_execz .LBB4_40
; %bb.42:                               ;   in Loop: Header=BB4_41 Depth=4
	s_mul_i32 s50, s49, s10
	s_mov_b32 s51, 0
	s_mov_b64 s[28:29], 0
.LBB4_43:                               ;   Parent Loop BB4_12 Depth=1
                                        ;     Parent Loop BB4_27 Depth=2
                                        ;       Parent Loop BB4_38 Depth=3
                                        ;         Parent Loop BB4_41 Depth=4
                                        ; =>        This Loop Header: Depth=5
                                        ;             Child Loop BB4_44 Depth 6
	s_add_i32 s4, s51, s50
	s_ashr_i32 s5, s4, 31
	s_lshl_b64 s[4:5], s[4:5], 3
	v_mov_b32_e32 v1, s5
	v_add_co_u32_e64 v13, s[4:5], s4, v25
	v_addc_co_u32_e64 v14, s[4:5], v26, v1, s[4:5]
	global_load_dwordx2 v[3:4], v[13:14], off
	s_mov_b64 s[30:31], 0
.LBB4_44:                               ;   Parent Loop BB4_12 Depth=1
                                        ;     Parent Loop BB4_27 Depth=2
                                        ;       Parent Loop BB4_38 Depth=3
                                        ;         Parent Loop BB4_41 Depth=4
                                        ;           Parent Loop BB4_43 Depth=5
                                        ; =>          This Inner Loop Header: Depth=6
	s_waitcnt vmcnt(0)
	v_add_f64 v[1:2], v[3:4], v[11:12]
	global_atomic_cmpswap_x2 v[1:2], v[13:14], v[1:4], off glc
	s_waitcnt vmcnt(0)
	v_cmp_eq_u64_e64 s[4:5], v[1:2], v[3:4]
	v_mov_b32_e32 v4, v2
	s_or_b64 s[30:31], s[4:5], s[30:31]
	v_mov_b32_e32 v3, v1
	s_andn2_b64 exec, exec, s[30:31]
	s_cbranch_execnz .LBB4_44
; %bb.45:                               ;   in Loop: Header=BB4_43 Depth=5
	s_or_b64 exec, exec, s[30:31]
	s_add_i32 s51, s51, 1
	v_cmp_ge_i32_e64 s[4:5], s51, v24
	s_or_b64 s[28:29], s[4:5], s[28:29]
	s_andn2_b64 exec, exec, s[28:29]
	s_cbranch_execnz .LBB4_43
	s_branch .LBB4_40
.LBB4_46:
	s_endpgm
.LBB4_47:
                                        ; implicit-def: $sgpr14_sgpr15
	s_branch .LBB4_2
.LBB4_48:
                                        ; implicit-def: $sgpr16_sgpr17
	s_branch .LBB4_5
.LBB4_49:
                                        ; implicit-def: $sgpr22_sgpr23
	s_load_dword s3, s[4:5], 0x3c
	s_andn2_b64 vcc, exec, s[20:21]
	s_cbranch_vccz .LBB4_8
	s_branch .LBB4_9
	.section	.rodata,"a",@progbits
	.p2align	6, 0x0
	.amdhsa_kernel _ZN2at6native12_GLOBAL__N_130atomicadaptiveaveragegradinputIdEEvPT_PKS3_iiiiiil
		.amdhsa_group_segment_fixed_size 0
		.amdhsa_private_segment_fixed_size 0
		.amdhsa_kernarg_size 304
		.amdhsa_user_sgpr_count 6
		.amdhsa_user_sgpr_private_segment_buffer 1
		.amdhsa_user_sgpr_dispatch_ptr 0
		.amdhsa_user_sgpr_queue_ptr 0
		.amdhsa_user_sgpr_kernarg_segment_ptr 1
		.amdhsa_user_sgpr_dispatch_id 0
		.amdhsa_user_sgpr_flat_scratch_init 0
		.amdhsa_user_sgpr_private_segment_size 0
		.amdhsa_uses_dynamic_stack 0
		.amdhsa_system_sgpr_private_segment_wavefront_offset 0
		.amdhsa_system_sgpr_workgroup_id_x 1
		.amdhsa_system_sgpr_workgroup_id_y 1
		.amdhsa_system_sgpr_workgroup_id_z 0
		.amdhsa_system_sgpr_workgroup_info 0
		.amdhsa_system_vgpr_workitem_id 1
		.amdhsa_next_free_vgpr 32
		.amdhsa_next_free_sgpr 52
		.amdhsa_reserve_vcc 1
		.amdhsa_reserve_flat_scratch 0
		.amdhsa_float_round_mode_32 0
		.amdhsa_float_round_mode_16_64 0
		.amdhsa_float_denorm_mode_32 3
		.amdhsa_float_denorm_mode_16_64 3
		.amdhsa_dx10_clamp 1
		.amdhsa_ieee_mode 1
		.amdhsa_fp16_overflow 0
		.amdhsa_exception_fp_ieee_invalid_op 0
		.amdhsa_exception_fp_denorm_src 0
		.amdhsa_exception_fp_ieee_div_zero 0
		.amdhsa_exception_fp_ieee_overflow 0
		.amdhsa_exception_fp_ieee_underflow 0
		.amdhsa_exception_fp_ieee_inexact 0
		.amdhsa_exception_int_div_zero 0
	.end_amdhsa_kernel
	.section	.text._ZN2at6native12_GLOBAL__N_130atomicadaptiveaveragegradinputIdEEvPT_PKS3_iiiiiil,"axG",@progbits,_ZN2at6native12_GLOBAL__N_130atomicadaptiveaveragegradinputIdEEvPT_PKS3_iiiiiil,comdat
.Lfunc_end4:
	.size	_ZN2at6native12_GLOBAL__N_130atomicadaptiveaveragegradinputIdEEvPT_PKS3_iiiiiil, .Lfunc_end4-_ZN2at6native12_GLOBAL__N_130atomicadaptiveaveragegradinputIdEEvPT_PKS3_iiiiiil
                                        ; -- End function
	.set _ZN2at6native12_GLOBAL__N_130atomicadaptiveaveragegradinputIdEEvPT_PKS3_iiiiiil.num_vgpr, 32
	.set _ZN2at6native12_GLOBAL__N_130atomicadaptiveaveragegradinputIdEEvPT_PKS3_iiiiiil.num_agpr, 0
	.set _ZN2at6native12_GLOBAL__N_130atomicadaptiveaveragegradinputIdEEvPT_PKS3_iiiiiil.numbered_sgpr, 52
	.set _ZN2at6native12_GLOBAL__N_130atomicadaptiveaveragegradinputIdEEvPT_PKS3_iiiiiil.num_named_barrier, 0
	.set _ZN2at6native12_GLOBAL__N_130atomicadaptiveaveragegradinputIdEEvPT_PKS3_iiiiiil.private_seg_size, 0
	.set _ZN2at6native12_GLOBAL__N_130atomicadaptiveaveragegradinputIdEEvPT_PKS3_iiiiiil.uses_vcc, 1
	.set _ZN2at6native12_GLOBAL__N_130atomicadaptiveaveragegradinputIdEEvPT_PKS3_iiiiiil.uses_flat_scratch, 0
	.set _ZN2at6native12_GLOBAL__N_130atomicadaptiveaveragegradinputIdEEvPT_PKS3_iiiiiil.has_dyn_sized_stack, 0
	.set _ZN2at6native12_GLOBAL__N_130atomicadaptiveaveragegradinputIdEEvPT_PKS3_iiiiiil.has_recursion, 0
	.set _ZN2at6native12_GLOBAL__N_130atomicadaptiveaveragegradinputIdEEvPT_PKS3_iiiiiil.has_indirect_call, 0
	.section	.AMDGPU.csdata,"",@progbits
; Kernel info:
; codeLenInByte = 6504
; TotalNumSgprs: 56
; NumVgprs: 32
; ScratchSize: 0
; MemoryBound: 0
; FloatMode: 240
; IeeeMode: 1
; LDSByteSize: 0 bytes/workgroup (compile time only)
; SGPRBlocks: 6
; VGPRBlocks: 7
; NumSGPRsForWavesPerEU: 56
; NumVGPRsForWavesPerEU: 32
; Occupancy: 8
; WaveLimiterHint : 0
; COMPUTE_PGM_RSRC2:SCRATCH_EN: 0
; COMPUTE_PGM_RSRC2:USER_SGPR: 6
; COMPUTE_PGM_RSRC2:TRAP_HANDLER: 0
; COMPUTE_PGM_RSRC2:TGID_X_EN: 1
; COMPUTE_PGM_RSRC2:TGID_Y_EN: 1
; COMPUTE_PGM_RSRC2:TGID_Z_EN: 0
; COMPUTE_PGM_RSRC2:TIDIG_COMP_CNT: 1
	.section	.text._ZN2at6native12_GLOBAL__N_130atomicadaptiveaveragegradinputIfEEvPT_PKS3_iiiiiil,"axG",@progbits,_ZN2at6native12_GLOBAL__N_130atomicadaptiveaveragegradinputIfEEvPT_PKS3_iiiiiil,comdat
	.globl	_ZN2at6native12_GLOBAL__N_130atomicadaptiveaveragegradinputIfEEvPT_PKS3_iiiiiil ; -- Begin function _ZN2at6native12_GLOBAL__N_130atomicadaptiveaveragegradinputIfEEvPT_PKS3_iiiiiil
	.p2align	8
	.type	_ZN2at6native12_GLOBAL__N_130atomicadaptiveaveragegradinputIfEEvPT_PKS3_iiiiiil,@function
_ZN2at6native12_GLOBAL__N_130atomicadaptiveaveragegradinputIfEEvPT_PKS3_iiiiiil: ; @_ZN2at6native12_GLOBAL__N_130atomicadaptiveaveragegradinputIfEEvPT_PKS3_iiiiiil
; %bb.0:
	s_load_dwordx8 s[8:15], s[4:5], 0x10
	s_mov_b32 s16, 0
	s_waitcnt lgkmcnt(0)
	s_add_u32 s0, s14, s6
	s_addc_u32 s1, s15, 0
	s_ashr_i32 s3, s11, 31
	s_mov_b32 s2, s11
	s_or_b64 s[14:15], s[0:1], s[2:3]
	s_mov_b32 s17, s15
	s_cmp_lg_u64 s[16:17], 0
	s_cbranch_scc0 .LBB5_47
; %bb.1:
	s_ashr_i32 s14, s3, 31
	s_add_u32 s16, s2, s14
	s_mov_b32 s15, s14
	s_addc_u32 s17, s3, s14
	s_xor_b64 s[18:19], s[16:17], s[14:15]
	v_cvt_f32_u32_e32 v2, s18
	v_cvt_f32_u32_e32 v3, s19
	s_sub_u32 s6, 0, s18
	s_subb_u32 s11, 0, s19
	v_madmk_f32 v2, v3, 0x4f800000, v2
	v_rcp_f32_e32 v2, v2
	v_mul_f32_e32 v2, 0x5f7ffffc, v2
	v_mul_f32_e32 v3, 0x2f800000, v2
	v_trunc_f32_e32 v3, v3
	v_madmk_f32 v2, v3, 0xcf800000, v2
	v_cvt_u32_f32_e32 v3, v3
	v_cvt_u32_f32_e32 v2, v2
	v_readfirstlane_b32 s22, v3
	v_readfirstlane_b32 s20, v2
	s_mul_i32 s21, s6, s22
	s_mul_hi_u32 s24, s6, s20
	s_mul_i32 s23, s11, s20
	s_add_i32 s21, s24, s21
	s_add_i32 s21, s21, s23
	s_mul_i32 s25, s6, s20
	s_mul_i32 s24, s20, s21
	s_mul_hi_u32 s26, s20, s25
	s_mul_hi_u32 s23, s20, s21
	s_add_u32 s24, s26, s24
	s_addc_u32 s23, 0, s23
	s_mul_hi_u32 s27, s22, s25
	s_mul_i32 s25, s22, s25
	s_add_u32 s24, s24, s25
	s_mul_hi_u32 s26, s22, s21
	s_addc_u32 s23, s23, s27
	s_addc_u32 s24, s26, 0
	s_mul_i32 s21, s22, s21
	s_add_u32 s21, s23, s21
	s_addc_u32 s23, 0, s24
	s_add_u32 s24, s20, s21
	s_cselect_b64 s[20:21], -1, 0
	s_cmp_lg_u64 s[20:21], 0
	s_addc_u32 s22, s22, s23
	s_mul_i32 s20, s6, s22
	s_mul_hi_u32 s21, s6, s24
	s_add_i32 s20, s21, s20
	s_mul_i32 s11, s11, s24
	s_add_i32 s20, s20, s11
	s_mul_i32 s6, s6, s24
	s_mul_hi_u32 s21, s22, s6
	s_mul_i32 s23, s22, s6
	s_mul_i32 s26, s24, s20
	s_mul_hi_u32 s6, s24, s6
	s_mul_hi_u32 s25, s24, s20
	s_add_u32 s6, s6, s26
	s_addc_u32 s25, 0, s25
	s_add_u32 s6, s6, s23
	s_mul_hi_u32 s11, s22, s20
	s_addc_u32 s6, s25, s21
	s_addc_u32 s11, s11, 0
	s_mul_i32 s20, s22, s20
	s_add_u32 s6, s6, s20
	s_addc_u32 s11, 0, s11
	s_add_u32 s6, s24, s6
	s_cselect_b64 s[20:21], -1, 0
	s_cmp_lg_u64 s[20:21], 0
	s_addc_u32 s11, s22, s11
	s_ashr_i32 s20, s1, 31
	s_add_u32 s22, s0, s20
	s_mov_b32 s21, s20
	s_addc_u32 s23, s1, s20
	s_xor_b64 s[22:23], s[22:23], s[20:21]
	s_mul_i32 s25, s22, s11
	s_mul_hi_u32 s26, s22, s6
	s_mul_hi_u32 s24, s22, s11
	s_add_u32 s25, s26, s25
	s_addc_u32 s24, 0, s24
	s_mul_hi_u32 s27, s23, s6
	s_mul_i32 s6, s23, s6
	s_add_u32 s6, s25, s6
	s_mul_hi_u32 s26, s23, s11
	s_addc_u32 s6, s24, s27
	s_addc_u32 s24, s26, 0
	s_mul_i32 s11, s23, s11
	s_add_u32 s6, s6, s11
	s_addc_u32 s11, 0, s24
	s_mul_i32 s24, s18, s11
	s_mul_hi_u32 s25, s18, s6
	s_add_i32 s24, s25, s24
	s_mul_i32 s25, s19, s6
	s_add_i32 s28, s24, s25
	s_sub_i32 s26, s23, s28
	s_mul_i32 s24, s18, s6
	s_sub_u32 s22, s22, s24
	s_cselect_b64 s[24:25], -1, 0
	s_cmp_lg_u64 s[24:25], 0
	s_subb_u32 s29, s26, s19
	s_sub_u32 s30, s22, s18
	s_cselect_b64 s[26:27], -1, 0
	s_cmp_lg_u64 s[26:27], 0
	s_subb_u32 s26, s29, 0
	s_cmp_ge_u32 s26, s19
	s_cselect_b32 s27, -1, 0
	s_cmp_ge_u32 s30, s18
	s_cselect_b32 s29, -1, 0
	s_cmp_eq_u32 s26, s19
	s_cselect_b32 s26, s29, s27
	s_add_u32 s27, s6, 1
	s_addc_u32 s29, s11, 0
	s_add_u32 s30, s6, 2
	s_addc_u32 s31, s11, 0
	s_cmp_lg_u32 s26, 0
	s_cselect_b32 s26, s30, s27
	s_cselect_b32 s27, s31, s29
	s_cmp_lg_u64 s[24:25], 0
	s_subb_u32 s23, s23, s28
	s_cmp_ge_u32 s23, s19
	s_cselect_b32 s24, -1, 0
	s_cmp_ge_u32 s22, s18
	s_cselect_b32 s18, -1, 0
	s_cmp_eq_u32 s23, s19
	s_cselect_b32 s18, s18, s24
	s_cmp_lg_u32 s18, 0
	s_cselect_b32 s19, s27, s11
	s_cselect_b32 s18, s26, s6
	s_xor_b64 s[14:15], s[20:21], s[14:15]
	s_xor_b64 s[18:19], s[18:19], s[14:15]
	s_sub_u32 s14, s18, s14
	s_subb_u32 s15, s19, s15
	s_cbranch_execnz .LBB5_3
.LBB5_2:
	v_cvt_f32_u32_e32 v2, s2
	s_sub_i32 s6, 0, s2
	s_mov_b32 s15, 0
	v_rcp_iflag_f32_e32 v2, v2
	v_mul_f32_e32 v2, 0x4f7ffffe, v2
	v_cvt_u32_f32_e32 v2, v2
	v_readfirstlane_b32 s11, v2
	s_mul_i32 s6, s6, s11
	s_mul_hi_u32 s6, s11, s6
	s_add_i32 s11, s11, s6
	s_mul_hi_u32 s6, s0, s11
	s_mul_i32 s14, s6, s2
	s_sub_i32 s14, s0, s14
	s_add_i32 s11, s6, 1
	s_sub_i32 s16, s14, s2
	s_cmp_ge_u32 s14, s2
	s_cselect_b32 s6, s11, s6
	s_cselect_b32 s14, s16, s14
	s_add_i32 s11, s6, 1
	s_cmp_ge_u32 s14, s2
	s_cselect_b32 s14, s11, s6
.LBB5_3:
	s_mul_i32 s6, s14, s3
	s_mul_hi_u32 s11, s14, s2
	s_add_i32 s6, s11, s6
	s_mul_i32 s11, s15, s2
	s_add_i32 s6, s6, s11
	s_mul_i32 s11, s14, s2
	s_sub_u32 s11, s0, s11
	s_subb_u32 s15, s1, s6
	s_abs_i32 s6, s2
	v_cvt_f32_u32_e32 v2, s6
	s_sub_i32 s19, 0, s6
	s_abs_i32 s18, s11
	s_xor_b32 s16, s11, s2
	v_rcp_iflag_f32_e32 v2, v2
	s_ashr_i32 s24, s8, 31
	s_ashr_i32 s17, s16, 31
	s_mov_b32 s16, 0
	v_mul_f32_e32 v2, 0x4f7ffffe, v2
	v_cvt_u32_f32_e32 v2, v2
	v_readfirstlane_b32 s20, v2
	s_mul_i32 s19, s19, s20
	s_mul_hi_u32 s19, s20, s19
	s_add_i32 s20, s20, s19
	s_mul_hi_u32 s19, s18, s20
	s_mul_i32 s20, s19, s6
	s_sub_i32 s18, s18, s20
	s_add_i32 s20, s19, 1
	s_sub_i32 s21, s18, s6
	s_cmp_ge_u32 s18, s6
	s_cselect_b32 s19, s20, s19
	s_cselect_b32 s18, s21, s18
	s_add_i32 s20, s19, 1
	s_cmp_ge_u32 s18, s6
	s_cselect_b32 s6, s20, s19
	s_xor_b32 s6, s6, s17
	s_sub_i32 s6, s6, s17
	s_mul_i32 s17, s6, s2
	s_sub_i32 s17, s11, s17
	s_mul_hi_i32 s19, s17, s8
	s_mul_i32 s18, s17, s8
	s_or_b64 s[20:21], s[18:19], s[2:3]
	s_mov_b32 s17, s21
	s_cmp_lg_u64 s[16:17], 0
	s_cbranch_scc0 .LBB5_48
; %bb.4:
	s_ashr_i32 s16, s3, 31
	s_add_u32 s20, s2, s16
	s_mov_b32 s17, s16
	s_addc_u32 s21, s3, s16
	s_xor_b64 s[22:23], s[20:21], s[16:17]
	v_cvt_f32_u32_e32 v2, s22
	v_cvt_f32_u32_e32 v3, s23
	s_sub_u32 s25, 0, s22
	s_subb_u32 s28, 0, s23
	v_madmk_f32 v2, v3, 0x4f800000, v2
	v_rcp_f32_e32 v2, v2
	v_mul_f32_e32 v2, 0x5f7ffffc, v2
	v_mul_f32_e32 v3, 0x2f800000, v2
	v_trunc_f32_e32 v3, v3
	v_madmk_f32 v2, v3, 0xcf800000, v2
	v_cvt_u32_f32_e32 v3, v3
	v_cvt_u32_f32_e32 v2, v2
	v_readfirstlane_b32 s29, v3
	v_readfirstlane_b32 s26, v2
	s_mul_i32 s27, s25, s29
	s_mul_hi_u32 s31, s25, s26
	s_mul_i32 s30, s28, s26
	s_add_i32 s27, s31, s27
	s_add_i32 s27, s27, s30
	s_mul_i32 s33, s25, s26
	s_mul_i32 s31, s26, s27
	s_mul_hi_u32 s34, s26, s33
	s_mul_hi_u32 s30, s26, s27
	s_add_u32 s31, s34, s31
	s_addc_u32 s30, 0, s30
	s_mul_hi_u32 s35, s29, s33
	s_mul_i32 s33, s29, s33
	s_add_u32 s31, s31, s33
	s_mul_hi_u32 s34, s29, s27
	s_addc_u32 s30, s30, s35
	s_addc_u32 s31, s34, 0
	s_mul_i32 s27, s29, s27
	s_add_u32 s27, s30, s27
	s_addc_u32 s30, 0, s31
	s_add_u32 s31, s26, s27
	s_cselect_b64 s[26:27], -1, 0
	s_cmp_lg_u64 s[26:27], 0
	s_addc_u32 s29, s29, s30
	s_mul_i32 s26, s25, s29
	s_mul_hi_u32 s27, s25, s31
	s_add_i32 s26, s27, s26
	s_mul_i32 s28, s28, s31
	s_add_i32 s26, s26, s28
	s_mul_i32 s25, s25, s31
	s_mul_hi_u32 s28, s29, s25
	s_mul_i32 s30, s29, s25
	s_mul_i32 s34, s31, s26
	s_mul_hi_u32 s25, s31, s25
	s_mul_hi_u32 s33, s31, s26
	s_add_u32 s25, s25, s34
	s_addc_u32 s33, 0, s33
	s_add_u32 s25, s25, s30
	s_mul_hi_u32 s27, s29, s26
	s_addc_u32 s25, s33, s28
	s_addc_u32 s27, s27, 0
	s_mul_i32 s26, s29, s26
	s_add_u32 s25, s25, s26
	s_addc_u32 s28, 0, s27
	s_add_u32 s25, s31, s25
	s_cselect_b64 s[26:27], -1, 0
	s_cmp_lg_u64 s[26:27], 0
	s_addc_u32 s30, s29, s28
	s_ashr_i32 s26, s19, 31
	s_add_u32 s28, s18, s26
	s_mov_b32 s27, s26
	s_addc_u32 s29, s19, s26
	s_xor_b64 s[28:29], s[28:29], s[26:27]
	s_mul_i32 s31, s28, s30
	s_mul_hi_u32 s33, s28, s25
	s_mul_hi_u32 s19, s28, s30
	s_add_u32 s31, s33, s31
	s_addc_u32 s19, 0, s19
	s_mul_hi_u32 s34, s29, s25
	s_mul_i32 s25, s29, s25
	s_add_u32 s25, s31, s25
	s_mul_hi_u32 s33, s29, s30
	s_addc_u32 s19, s19, s34
	s_addc_u32 s25, s33, 0
	s_mul_i32 s30, s29, s30
	s_add_u32 s19, s19, s30
	s_addc_u32 s25, 0, s25
	s_mul_i32 s30, s22, s25
	s_mul_hi_u32 s31, s22, s19
	s_add_i32 s30, s31, s30
	s_mul_i32 s31, s23, s19
	s_add_i32 s33, s30, s31
	s_sub_i32 s34, s29, s33
	s_mul_i32 s30, s22, s19
	s_sub_u32 s28, s28, s30
	s_cselect_b64 s[30:31], -1, 0
	s_cmp_lg_u64 s[30:31], 0
	s_subb_u32 s36, s34, s23
	s_sub_u32 s37, s28, s22
	s_cselect_b64 s[34:35], -1, 0
	s_cmp_lg_u64 s[34:35], 0
	s_subb_u32 s34, s36, 0
	s_cmp_ge_u32 s34, s23
	s_cselect_b32 s35, -1, 0
	s_cmp_ge_u32 s37, s22
	s_cselect_b32 s36, -1, 0
	s_cmp_eq_u32 s34, s23
	s_cselect_b32 s34, s36, s35
	s_add_u32 s35, s19, 1
	s_addc_u32 s36, s25, 0
	s_add_u32 s37, s19, 2
	s_addc_u32 s38, s25, 0
	s_cmp_lg_u32 s34, 0
	s_cselect_b32 s34, s37, s35
	s_cselect_b32 s35, s38, s36
	s_cmp_lg_u64 s[30:31], 0
	s_subb_u32 s29, s29, s33
	s_cmp_ge_u32 s29, s23
	s_cselect_b32 s30, -1, 0
	s_cmp_ge_u32 s28, s22
	s_cselect_b32 s22, -1, 0
	s_cmp_eq_u32 s29, s23
	s_cselect_b32 s22, s22, s30
	s_cmp_lg_u32 s22, 0
	s_cselect_b32 s23, s35, s25
	s_cselect_b32 s22, s34, s19
	s_xor_b64 s[16:17], s[26:27], s[16:17]
	s_xor_b64 s[22:23], s[22:23], s[16:17]
	s_sub_u32 s16, s22, s16
	s_cbranch_execnz .LBB5_6
.LBB5_5:
	v_cvt_f32_u32_e32 v2, s2
	s_sub_i32 s16, 0, s2
	v_rcp_iflag_f32_e32 v2, v2
	v_mul_f32_e32 v2, 0x4f7ffffe, v2
	v_cvt_u32_f32_e32 v2, v2
	v_readfirstlane_b32 s17, v2
	s_mul_i32 s16, s16, s17
	s_mul_hi_u32 s16, s17, s16
	s_add_i32 s17, s17, s16
	s_mul_hi_u32 s16, s18, s17
	s_mul_i32 s19, s16, s2
	s_sub_i32 s18, s18, s19
	s_add_i32 s17, s16, 1
	s_sub_i32 s19, s18, s2
	s_cmp_ge_u32 s18, s2
	s_cselect_b32 s16, s17, s16
	s_cselect_b32 s18, s19, s18
	s_add_i32 s17, s16, 1
	s_cmp_ge_u32 s18, s2
	s_cselect_b32 s16, s17, s16
.LBB5_6:
	s_add_u32 s11, s11, 1
	s_addc_u32 s15, s15, 0
	s_mul_i32 s17, s11, s24
	s_mul_hi_u32 s18, s11, s8
	s_add_i32 s17, s18, s17
	s_mul_i32 s15, s15, s8
	s_add_i32 s17, s17, s15
	s_mul_i32 s11, s11, s8
	s_add_u32 s18, s11, -1
	s_addc_u32 s19, s17, -1
	s_or_b64 s[20:21], s[18:19], s[2:3]
	s_mov_b32 s20, 0
	s_cmp_lg_u64 s[20:21], 0
	s_mov_b64 s[20:21], -1
	s_cbranch_scc0 .LBB5_49
; %bb.7:
	s_ashr_i32 s22, s3, 31
	s_add_u32 s20, s2, s22
	s_mov_b32 s23, s22
	s_addc_u32 s21, s3, s22
	s_xor_b64 s[24:25], s[20:21], s[22:23]
	v_cvt_f32_u32_e32 v2, s24
	v_cvt_f32_u32_e32 v3, s25
	s_sub_u32 s3, 0, s24
	s_subb_u32 s11, 0, s25
	v_madmk_f32 v2, v3, 0x4f800000, v2
	v_rcp_f32_e32 v2, v2
	v_mul_f32_e32 v2, 0x5f7ffffc, v2
	v_mul_f32_e32 v3, 0x2f800000, v2
	v_trunc_f32_e32 v3, v3
	v_madmk_f32 v2, v3, 0xcf800000, v2
	v_cvt_u32_f32_e32 v3, v3
	v_cvt_u32_f32_e32 v2, v2
	v_readfirstlane_b32 s15, v3
	v_readfirstlane_b32 s17, v2
	s_mul_i32 s26, s3, s15
	s_mul_hi_u32 s28, s3, s17
	s_mul_i32 s27, s11, s17
	s_add_i32 s26, s28, s26
	s_add_i32 s26, s26, s27
	s_mul_i32 s29, s3, s17
	s_mul_i32 s28, s17, s26
	s_mul_hi_u32 s30, s17, s29
	s_mul_hi_u32 s27, s17, s26
	s_add_u32 s28, s30, s28
	s_addc_u32 s27, 0, s27
	s_mul_hi_u32 s31, s15, s29
	s_mul_i32 s29, s15, s29
	s_add_u32 s28, s28, s29
	s_mul_hi_u32 s30, s15, s26
	s_addc_u32 s27, s27, s31
	s_addc_u32 s28, s30, 0
	s_mul_i32 s26, s15, s26
	s_add_u32 s26, s27, s26
	s_addc_u32 s28, 0, s28
	s_add_u32 s17, s17, s26
	s_cselect_b64 s[26:27], -1, 0
	s_cmp_lg_u64 s[26:27], 0
	s_addc_u32 s15, s15, s28
	s_mul_i32 s26, s3, s15
	s_mul_hi_u32 s27, s3, s17
	s_add_i32 s26, s27, s26
	s_mul_i32 s11, s11, s17
	s_add_i32 s26, s26, s11
	s_mul_i32 s3, s3, s17
	s_mul_hi_u32 s27, s15, s3
	s_mul_i32 s28, s15, s3
	s_mul_i32 s30, s17, s26
	s_mul_hi_u32 s3, s17, s3
	s_mul_hi_u32 s29, s17, s26
	s_add_u32 s3, s3, s30
	s_addc_u32 s29, 0, s29
	s_add_u32 s3, s3, s28
	s_mul_hi_u32 s11, s15, s26
	s_addc_u32 s3, s29, s27
	s_addc_u32 s11, s11, 0
	s_mul_i32 s26, s15, s26
	s_add_u32 s3, s3, s26
	s_addc_u32 s11, 0, s11
	s_add_u32 s3, s17, s3
	s_cselect_b64 s[26:27], -1, 0
	s_cmp_lg_u64 s[26:27], 0
	s_addc_u32 s11, s15, s11
	s_ashr_i32 s26, s19, 31
	s_add_u32 s28, s18, s26
	s_mov_b32 s27, s26
	s_addc_u32 s29, s19, s26
	s_xor_b64 s[28:29], s[28:29], s[26:27]
	s_mul_i32 s17, s28, s11
	s_mul_hi_u32 s19, s28, s3
	s_mul_hi_u32 s15, s28, s11
	s_add_u32 s17, s19, s17
	s_addc_u32 s15, 0, s15
	s_mul_hi_u32 s30, s29, s3
	s_mul_i32 s3, s29, s3
	s_add_u32 s3, s17, s3
	s_mul_hi_u32 s19, s29, s11
	s_addc_u32 s3, s15, s30
	s_addc_u32 s15, s19, 0
	s_mul_i32 s11, s29, s11
	s_add_u32 s3, s3, s11
	s_addc_u32 s11, 0, s15
	s_mul_i32 s15, s24, s11
	s_mul_hi_u32 s17, s24, s3
	s_add_i32 s15, s17, s15
	s_mul_i32 s17, s25, s3
	s_add_i32 s15, s15, s17
	s_sub_i32 s17, s29, s15
	s_mul_i32 s19, s24, s3
	s_sub_u32 s19, s28, s19
	s_cselect_b64 s[30:31], -1, 0
	s_cmp_lg_u64 s[30:31], 0
	s_subb_u32 s17, s17, s25
	s_sub_u32 s28, s19, s24
	s_cselect_b64 s[34:35], -1, 0
	s_cmp_lg_u64 s[34:35], 0
	s_subb_u32 s17, s17, 0
	s_cmp_ge_u32 s17, s25
	s_cselect_b32 s33, -1, 0
	s_cmp_ge_u32 s28, s24
	s_cselect_b32 s28, -1, 0
	s_cmp_eq_u32 s17, s25
	s_cselect_b32 s17, s28, s33
	s_add_u32 s28, s3, 1
	s_addc_u32 s33, s11, 0
	s_add_u32 s34, s3, 2
	s_addc_u32 s35, s11, 0
	s_cmp_lg_u32 s17, 0
	s_cselect_b32 s17, s34, s28
	s_cselect_b32 s28, s35, s33
	s_cmp_lg_u64 s[30:31], 0
	s_subb_u32 s15, s29, s15
	s_cmp_ge_u32 s15, s25
	s_cselect_b32 s29, -1, 0
	s_cmp_ge_u32 s19, s24
	s_cselect_b32 s19, -1, 0
	s_cmp_eq_u32 s15, s25
	s_cselect_b32 s15, s19, s29
	s_cmp_lg_u32 s15, 0
	s_cselect_b32 s25, s28, s11
	s_cselect_b32 s24, s17, s3
	s_xor_b64 s[22:23], s[26:27], s[22:23]
	s_xor_b64 s[24:25], s[24:25], s[22:23]
	s_sub_u32 s22, s24, s22
	s_load_dword s3, s[4:5], 0x3c
	s_cbranch_execnz .LBB5_9
.LBB5_8:
	v_cvt_f32_u32_e32 v2, s2
	s_sub_i32 s11, 0, s2
	v_rcp_iflag_f32_e32 v2, v2
	v_mul_f32_e32 v2, 0x4f7ffffe, v2
	v_cvt_u32_f32_e32 v2, v2
	v_readfirstlane_b32 s15, v2
	s_mul_i32 s11, s11, s15
	s_mul_hi_u32 s11, s15, s11
	s_add_i32 s15, s15, s11
	s_mul_hi_u32 s11, s18, s15
	s_mul_i32 s17, s11, s2
	s_sub_i32 s17, s18, s17
	s_add_i32 s15, s11, 1
	s_sub_i32 s18, s17, s2
	s_cmp_ge_u32 s17, s2
	s_cselect_b32 s11, s15, s11
	s_cselect_b32 s17, s18, s17
	s_add_i32 s15, s11, 1
	s_cmp_ge_u32 s17, s2
	s_cselect_b32 s22, s15, s11
.LBB5_9:
	s_waitcnt lgkmcnt(0)
	s_lshr_b32 s2, s3, 16
	s_mul_i32 s7, s7, s2
	v_add_u32_e32 v9, s7, v1
	v_cmp_gt_i32_e32 vcc, s12, v9
	s_and_saveexec_b64 s[18:19], vcc
	s_cbranch_execz .LBB5_46
; %bb.10:
	s_mul_i32 s6, s6, s8
	s_add_i32 s6, s16, s6
	s_load_dword s45, s[4:5], 0x34
	s_load_dwordx4 s[16:19], s[4:5], 0x0
	s_mul_i32 s4, s8, s14
	s_add_i32 s5, s4, s6
	s_mul_i32 s4, s10, s9
	s_sub_i32 s11, s22, s6
	s_mul_i32 s6, s4, s5
	s_ashr_i32 s7, s6, 31
	s_add_i32 s11, s11, 1
	s_lshl_b64 s[6:7], s[6:7], 2
	s_waitcnt lgkmcnt(0)
	s_add_u32 s33, s16, s6
	s_mul_i32 s6, s13, s12
	s_addc_u32 s34, s17, s7
	s_mul_hi_i32 s5, s13, s12
	s_mul_i32 s1, s6, s1
	s_mul_hi_u32 s7, s6, s0
	s_add_i32 s1, s7, s1
	s_mul_i32 s5, s5, s0
	s_add_i32 s1, s1, s5
	s_mul_i32 s0, s6, s0
	s_ashr_i32 s35, s12, 31
	s_ashr_i32 s36, s13, 31
	s_lshl_b64 s[0:1], s[0:1], 2
	s_add_u32 s37, s18, s0
	s_addc_u32 s38, s19, s1
	s_and_b32 s39, s3, 0xffff
	s_ashr_i32 s40, s9, 31
	s_ashr_i32 s41, s10, 31
	s_cmp_gt_i32 s11, 0
	s_cselect_b64 s[6:7], -1, 0
	s_abs_i32 s42, s13
	v_cvt_f32_u32_e32 v1, s42
	s_ashr_i32 s47, s12, 31
	s_mul_i32 s45, s45, s2
	s_add_i32 s2, s12, s47
	s_xor_b32 s48, s2, s47
	s_mov_b32 s43, s12
	v_cvt_f32_u32_e32 v2, s48
	v_rcp_iflag_f32_e32 v1, v1
	v_cvt_f32_u32_e32 v3, s43
	s_sub_i32 s2, 0, s42
	v_rcp_iflag_f32_e32 v2, v2
	v_mul_f32_e32 v1, 0x4f7ffffe, v1
	v_rcp_iflag_f32_e32 v3, v3
	v_cvt_u32_f32_e32 v1, v1
	v_mul_f32_e32 v2, 0x4f7ffffe, v2
	v_cvt_u32_f32_e32 v5, v2
	v_mul_f32_e32 v2, 0x4f7ffffe, v3
	v_mul_lo_u32 v4, s2, v1
	v_cvt_u32_f32_e32 v3, v2
	s_sub_i32 s2, 0, s48
	v_mul_lo_u32 v2, s2, v5
	s_sub_i32 s2, 0, s12
	v_mul_hi_u32 v4, v1, v4
	v_mul_lo_u32 v6, s2, v3
	v_cvt_f32_i32_e32 v10, s11
	s_ashr_i32 s5, s4, 31
	v_add_u32_e32 v11, v1, v4
	v_mul_hi_u32 v1, v5, v2
	v_mul_hi_u32 v4, v3, v6
	s_mov_b32 s44, s13
	s_mov_b32 s46, s9
	v_cmp_gt_i32_e64 s[0:1], s13, v0
	v_mov_b32_e32 v2, 0
	s_mov_b64 s[8:9], 0
	v_add_u32_e32 v12, v5, v1
	v_add_u32_e32 v13, v3, v4
	s_lshl_b64 s[14:15], s[4:5], 2
	s_ashr_i32 s16, s35, 31
	s_branch .LBB5_12
.LBB5_11:                               ;   in Loop: Header=BB5_12 Depth=1
	s_or_b64 exec, exec, s[18:19]
	v_add_u32_e32 v9, s45, v9
	v_cmp_le_i32_e32 vcc, s12, v9
	s_or_b64 s[8:9], vcc, s[8:9]
	s_andn2_b64 exec, exec, s[8:9]
	s_cbranch_execz .LBB5_46
.LBB5_12:                               ; =>This Loop Header: Depth=1
                                        ;     Child Loop BB5_27 Depth 2
                                        ;       Child Loop BB5_38 Depth 3
                                        ;         Child Loop BB5_41 Depth 4
                                        ;           Child Loop BB5_43 Depth 5
                                        ;             Child Loop BB5_44 Depth 6
	v_ashrrev_i32_e32 v8, 31, v9
	v_or_b32_e32 v4, s35, v8
	v_mov_b32_e32 v3, v2
	v_cmp_ne_u64_e32 vcc, 0, v[3:4]
                                        ; implicit-def: $vgpr3_vgpr4
	s_and_saveexec_b64 s[2:3], vcc
	s_xor_b64 s[2:3], exec, s[2:3]
	s_cbranch_execz .LBB5_14
; %bb.13:                               ;   in Loop: Header=BB5_12 Depth=1
	v_ashrrev_i32_e32 v1, 31, v9
	v_add_u32_e32 v3, v9, v1
	v_xor_b32_e32 v3, v3, v1
	v_mul_hi_u32 v4, v3, v12
	v_xor_b32_e32 v1, s47, v1
	v_mul_lo_u32 v5, v4, s48
	v_add_u32_e32 v6, 1, v4
	v_sub_u32_e32 v3, v3, v5
	v_subrev_u32_e32 v5, s48, v3
	v_cmp_le_u32_e32 vcc, s48, v3
	v_cndmask_b32_e32 v3, v3, v5, vcc
	v_cndmask_b32_e32 v4, v4, v6, vcc
	v_add_u32_e32 v5, 1, v4
	v_cmp_le_u32_e32 vcc, s48, v3
	v_cndmask_b32_e32 v3, v4, v5, vcc
	v_xor_b32_e32 v3, v3, v1
	v_sub_u32_e32 v3, v3, v1
	v_ashrrev_i32_e32 v4, 31, v3
.LBB5_14:                               ;   in Loop: Header=BB5_12 Depth=1
	s_andn2_saveexec_b64 s[2:3], s[2:3]
	s_cbranch_execz .LBB5_16
; %bb.15:                               ;   in Loop: Header=BB5_12 Depth=1
	v_mul_hi_u32 v1, v9, v13
	v_mul_lo_u32 v3, v1, s43
	v_add_u32_e32 v4, 1, v1
	v_sub_u32_e32 v3, v9, v3
	v_subrev_u32_e32 v5, s43, v3
	v_cmp_le_u32_e32 vcc, s43, v3
	v_cndmask_b32_e32 v3, v3, v5, vcc
	v_cndmask_b32_e32 v1, v1, v4, vcc
	v_add_u32_e32 v4, 1, v1
	v_cmp_le_u32_e32 vcc, s43, v3
	v_cndmask_b32_e32 v1, v1, v4, vcc
	v_mov_b32_e32 v4, v2
	v_mov_b32_e32 v3, v1
.LBB5_16:                               ;   in Loop: Header=BB5_12 Depth=1
	s_or_b64 exec, exec, s[2:3]
	v_mul_lo_u32 v1, v4, s43
	v_mul_lo_u32 v6, v3, s35
	v_mad_u64_u32 v[4:5], s[2:3], v3, s43, 0
	v_add3_u32 v1, v5, v6, v1
	v_sub_co_u32_e32 v4, vcc, v9, v4
	v_subb_co_u32_e32 v1, vcc, v8, v1, vcc
	v_mul_lo_u32 v1, v1, s46
	v_mul_lo_u32 v5, v4, s40
	v_mad_u64_u32 v[6:7], s[2:3], v4, s46, 0
	v_mov_b32_e32 v4, v2
	v_add3_u32 v7, v7, v5, v1
	v_or_b32_e32 v5, s35, v7
	v_cmp_ne_u64_e32 vcc, 0, v[4:5]
                                        ; implicit-def: $vgpr4_vgpr5
	s_and_saveexec_b64 s[2:3], vcc
	s_xor_b64 s[4:5], exec, s[2:3]
	s_cbranch_execz .LBB5_18
; %bb.17:                               ;   in Loop: Header=BB5_12 Depth=1
	s_add_u32 s2, s43, s16
	s_mov_b32 s17, s16
	s_addc_u32 s3, s35, s16
	s_xor_b64 s[18:19], s[2:3], s[16:17]
	v_cvt_f32_u32_e32 v1, s18
	v_cvt_f32_u32_e32 v4, s19
	s_sub_u32 s17, 0, s18
	s_subb_u32 s20, 0, s19
	v_mac_f32_e32 v1, 0x4f800000, v4
	v_rcp_f32_e32 v1, v1
	v_mul_f32_e32 v1, 0x5f7ffffc, v1
	v_mul_f32_e32 v4, 0x2f800000, v1
	v_trunc_f32_e32 v4, v4
	v_mac_f32_e32 v1, 0xcf800000, v4
	v_cvt_u32_f32_e32 v4, v4
	v_cvt_u32_f32_e32 v1, v1
	v_readfirstlane_b32 s21, v4
	v_readfirstlane_b32 s2, v1
	s_mul_i32 s3, s17, s21
	s_mul_hi_u32 s23, s17, s2
	s_mul_i32 s22, s20, s2
	s_add_i32 s3, s23, s3
	s_add_i32 s3, s3, s22
	s_mul_i32 s24, s17, s2
	s_mul_i32 s23, s2, s3
	s_mul_hi_u32 s25, s2, s24
	s_mul_hi_u32 s22, s2, s3
	s_add_u32 s23, s25, s23
	s_addc_u32 s22, 0, s22
	s_mul_hi_u32 s26, s21, s24
	s_mul_i32 s24, s21, s24
	s_add_u32 s23, s23, s24
	s_mul_hi_u32 s25, s21, s3
	s_addc_u32 s22, s22, s26
	s_addc_u32 s23, s25, 0
	s_mul_i32 s3, s21, s3
	s_add_u32 s3, s22, s3
	s_addc_u32 s22, 0, s23
	s_add_u32 s23, s2, s3
	s_cselect_b64 s[2:3], -1, 0
	s_cmp_lg_u64 s[2:3], 0
	s_addc_u32 s21, s21, s22
	s_mul_i32 s2, s17, s21
	s_mul_hi_u32 s3, s17, s23
	s_add_i32 s2, s3, s2
	s_mul_i32 s20, s20, s23
	s_add_i32 s2, s2, s20
	s_mul_i32 s17, s17, s23
	s_mul_hi_u32 s20, s21, s17
	s_mul_i32 s22, s21, s17
	s_mul_i32 s25, s23, s2
	s_mul_hi_u32 s17, s23, s17
	s_mul_hi_u32 s24, s23, s2
	s_add_u32 s17, s17, s25
	s_addc_u32 s24, 0, s24
	s_add_u32 s17, s17, s22
	s_mul_hi_u32 s3, s21, s2
	s_addc_u32 s17, s24, s20
	s_addc_u32 s3, s3, 0
	s_mul_i32 s2, s21, s2
	s_add_u32 s2, s17, s2
	s_addc_u32 s17, 0, s3
	s_add_u32 s20, s23, s2
	s_cselect_b64 s[2:3], -1, 0
	v_ashrrev_i32_e32 v1, 31, v7
	s_cmp_lg_u64 s[2:3], 0
	v_add_co_u32_e32 v4, vcc, v6, v1
	s_addc_u32 s17, s21, s17
	v_xor_b32_e32 v14, v4, v1
	v_addc_co_u32_e32 v6, vcc, v7, v1, vcc
	v_mad_u64_u32 v[4:5], s[2:3], v14, s17, 0
	v_mul_hi_u32 v7, v14, s20
	v_xor_b32_e32 v15, v6, v1
	v_xor_b32_e32 v1, s16, v1
	v_add_co_u32_e32 v16, vcc, v7, v4
	v_addc_co_u32_e32 v17, vcc, 0, v5, vcc
	v_mad_u64_u32 v[4:5], s[2:3], v15, s20, 0
	v_mad_u64_u32 v[6:7], s[2:3], v15, s17, 0
	v_add_co_u32_e32 v4, vcc, v16, v4
	v_addc_co_u32_e32 v4, vcc, v17, v5, vcc
	v_addc_co_u32_e32 v5, vcc, 0, v7, vcc
	v_add_co_u32_e32 v6, vcc, v4, v6
	v_addc_co_u32_e32 v4, vcc, 0, v5, vcc
	v_mul_lo_u32 v7, s19, v6
	v_mul_lo_u32 v16, s18, v4
	v_mad_u64_u32 v[4:5], s[2:3], s18, v6, 0
	v_add3_u32 v5, v5, v16, v7
	v_sub_u32_e32 v7, v15, v5
	v_mov_b32_e32 v16, s19
	v_sub_co_u32_e32 v4, vcc, v14, v4
	v_subb_co_u32_e64 v7, s[2:3], v7, v16, vcc
	v_subrev_co_u32_e64 v14, s[2:3], s18, v4
	v_subbrev_co_u32_e64 v7, s[2:3], 0, v7, s[2:3]
	v_cmp_le_u32_e64 s[2:3], s19, v7
	v_subb_co_u32_e32 v5, vcc, v15, v5, vcc
	v_cndmask_b32_e64 v16, 0, -1, s[2:3]
	v_cmp_le_u32_e64 s[2:3], s18, v14
	v_cmp_le_u32_e32 vcc, s19, v5
	v_cndmask_b32_e64 v14, 0, -1, s[2:3]
	v_cmp_eq_u32_e64 s[2:3], s19, v7
	v_cndmask_b32_e64 v15, 0, -1, vcc
	v_cmp_le_u32_e32 vcc, s18, v4
	v_cndmask_b32_e64 v7, v16, v14, s[2:3]
	v_cndmask_b32_e64 v4, 0, -1, vcc
	v_cmp_eq_u32_e32 vcc, s19, v5
	v_add_co_u32_e64 v14, s[2:3], 2, v6
	v_add_co_u32_e64 v16, s[2:3], 1, v6
	v_cndmask_b32_e32 v4, v15, v4, vcc
	v_cmp_ne_u32_e32 vcc, 0, v7
	v_cndmask_b32_e32 v5, v16, v14, vcc
	v_cmp_ne_u32_e32 vcc, 0, v4
	v_cndmask_b32_e32 v4, v6, v5, vcc
	v_xor_b32_e32 v4, v4, v1
	v_sub_co_u32_e32 v4, vcc, v4, v1
                                        ; implicit-def: $vgpr6_vgpr7
.LBB5_18:                               ;   in Loop: Header=BB5_12 Depth=1
	s_andn2_saveexec_b64 s[2:3], s[4:5]
	s_cbranch_execz .LBB5_20
; %bb.19:                               ;   in Loop: Header=BB5_12 Depth=1
	v_mul_hi_u32 v1, v6, v13
	v_mul_lo_u32 v4, v1, s43
	v_add_u32_e32 v5, 1, v1
	v_sub_u32_e32 v4, v6, v4
	v_subrev_u32_e32 v6, s43, v4
	v_cmp_le_u32_e32 vcc, s43, v4
	v_cndmask_b32_e32 v4, v4, v6, vcc
	v_cndmask_b32_e32 v1, v1, v5, vcc
	v_add_u32_e32 v5, 1, v1
	v_cmp_le_u32_e32 vcc, s43, v4
	v_cndmask_b32_e32 v4, v1, v5, vcc
.LBB5_20:                               ;   in Loop: Header=BB5_12 Depth=1
	s_or_b64 exec, exec, s[2:3]
	v_add_co_u32_e32 v1, vcc, 1, v9
	v_addc_co_u32_e32 v5, vcc, 0, v8, vcc
	v_mul_lo_u32 v7, v1, s40
	v_mul_lo_u32 v8, v5, s46
	v_mad_u64_u32 v[5:6], s[2:3], v1, s46, -1
	v_add3_u32 v6, v8, v6, v7
	v_or_b32_e32 v8, s35, v6
	v_mov_b32_e32 v7, v2
	v_cmp_ne_u64_e32 vcc, 0, v[7:8]
                                        ; implicit-def: $vgpr7_vgpr8
	s_and_saveexec_b64 s[2:3], vcc
	s_xor_b64 s[4:5], exec, s[2:3]
	s_cbranch_execnz .LBB5_23
; %bb.21:                               ;   in Loop: Header=BB5_12 Depth=1
	s_andn2_saveexec_b64 s[2:3], s[4:5]
	s_cbranch_execnz .LBB5_24
.LBB5_22:                               ;   in Loop: Header=BB5_12 Depth=1
	s_or_b64 exec, exec, s[2:3]
	s_and_saveexec_b64 s[18:19], s[0:1]
	s_cbranch_execz .LBB5_11
	s_branch .LBB5_25
.LBB5_23:                               ;   in Loop: Header=BB5_12 Depth=1
	s_add_u32 s2, s43, s16
	s_mov_b32 s17, s16
	s_addc_u32 s3, s35, s16
	s_xor_b64 s[18:19], s[2:3], s[16:17]
	v_cvt_f32_u32_e32 v1, s18
	v_cvt_f32_u32_e32 v7, s19
	s_sub_u32 s17, 0, s18
	s_subb_u32 s20, 0, s19
	v_mac_f32_e32 v1, 0x4f800000, v7
	v_rcp_f32_e32 v1, v1
	v_mul_f32_e32 v1, 0x5f7ffffc, v1
	v_mul_f32_e32 v7, 0x2f800000, v1
	v_trunc_f32_e32 v7, v7
	v_mac_f32_e32 v1, 0xcf800000, v7
	v_cvt_u32_f32_e32 v7, v7
	v_cvt_u32_f32_e32 v1, v1
	v_readfirstlane_b32 s21, v7
	v_readfirstlane_b32 s2, v1
	s_mul_i32 s3, s17, s21
	s_mul_hi_u32 s23, s17, s2
	s_mul_i32 s22, s20, s2
	s_add_i32 s3, s23, s3
	s_add_i32 s3, s3, s22
	s_mul_i32 s24, s17, s2
	s_mul_i32 s23, s2, s3
	s_mul_hi_u32 s25, s2, s24
	s_mul_hi_u32 s22, s2, s3
	s_add_u32 s23, s25, s23
	s_addc_u32 s22, 0, s22
	s_mul_hi_u32 s26, s21, s24
	s_mul_i32 s24, s21, s24
	s_add_u32 s23, s23, s24
	s_mul_hi_u32 s25, s21, s3
	s_addc_u32 s22, s22, s26
	s_addc_u32 s23, s25, 0
	s_mul_i32 s3, s21, s3
	s_add_u32 s3, s22, s3
	s_addc_u32 s22, 0, s23
	s_add_u32 s23, s2, s3
	s_cselect_b64 s[2:3], -1, 0
	s_cmp_lg_u64 s[2:3], 0
	s_addc_u32 s21, s21, s22
	s_mul_i32 s2, s17, s21
	s_mul_hi_u32 s3, s17, s23
	s_add_i32 s2, s3, s2
	s_mul_i32 s20, s20, s23
	s_add_i32 s2, s2, s20
	s_mul_i32 s17, s17, s23
	s_mul_hi_u32 s20, s21, s17
	s_mul_i32 s22, s21, s17
	s_mul_i32 s25, s23, s2
	s_mul_hi_u32 s17, s23, s17
	s_mul_hi_u32 s24, s23, s2
	s_add_u32 s17, s17, s25
	s_addc_u32 s24, 0, s24
	s_add_u32 s17, s17, s22
	s_mul_hi_u32 s3, s21, s2
	s_addc_u32 s17, s24, s20
	s_addc_u32 s3, s3, 0
	s_mul_i32 s2, s21, s2
	s_add_u32 s2, s17, s2
	s_addc_u32 s17, 0, s3
	s_add_u32 s20, s23, s2
	s_cselect_b64 s[2:3], -1, 0
	v_ashrrev_i32_e32 v1, 31, v6
	s_cmp_lg_u64 s[2:3], 0
	v_add_co_u32_e32 v5, vcc, v5, v1
	s_addc_u32 s17, s21, s17
	v_xor_b32_e32 v14, v5, v1
	v_addc_co_u32_e32 v7, vcc, v6, v1, vcc
	v_mad_u64_u32 v[5:6], s[2:3], v14, s17, 0
	v_mul_hi_u32 v8, v14, s20
	v_xor_b32_e32 v15, v7, v1
	v_xor_b32_e32 v1, s16, v1
	v_add_co_u32_e32 v16, vcc, v8, v5
	v_addc_co_u32_e32 v17, vcc, 0, v6, vcc
	v_mad_u64_u32 v[5:6], s[2:3], v15, s20, 0
	v_mad_u64_u32 v[7:8], s[2:3], v15, s17, 0
	v_add_co_u32_e32 v5, vcc, v16, v5
	v_addc_co_u32_e32 v5, vcc, v17, v6, vcc
	v_addc_co_u32_e32 v6, vcc, 0, v8, vcc
	v_add_co_u32_e32 v7, vcc, v5, v7
	v_addc_co_u32_e32 v5, vcc, 0, v6, vcc
	v_mul_lo_u32 v8, s19, v7
	v_mul_lo_u32 v16, s18, v5
	v_mad_u64_u32 v[5:6], s[2:3], s18, v7, 0
	v_add3_u32 v6, v6, v16, v8
	v_sub_u32_e32 v8, v15, v6
	v_mov_b32_e32 v16, s19
	v_sub_co_u32_e32 v5, vcc, v14, v5
	v_subb_co_u32_e64 v8, s[2:3], v8, v16, vcc
	v_subrev_co_u32_e64 v14, s[2:3], s18, v5
	v_subbrev_co_u32_e64 v8, s[2:3], 0, v8, s[2:3]
	v_cmp_le_u32_e64 s[2:3], s19, v8
	v_subb_co_u32_e32 v6, vcc, v15, v6, vcc
	v_cndmask_b32_e64 v16, 0, -1, s[2:3]
	v_cmp_le_u32_e64 s[2:3], s18, v14
	v_cmp_le_u32_e32 vcc, s19, v6
	v_cndmask_b32_e64 v14, 0, -1, s[2:3]
	v_cmp_eq_u32_e64 s[2:3], s19, v8
	v_cndmask_b32_e64 v15, 0, -1, vcc
	v_cmp_le_u32_e32 vcc, s18, v5
	v_cndmask_b32_e64 v8, v16, v14, s[2:3]
	v_cndmask_b32_e64 v5, 0, -1, vcc
	v_cmp_eq_u32_e32 vcc, s19, v6
	v_add_co_u32_e64 v14, s[2:3], 2, v7
	v_add_co_u32_e64 v16, s[2:3], 1, v7
	v_cndmask_b32_e32 v5, v15, v5, vcc
	v_cmp_ne_u32_e32 vcc, 0, v8
	v_cndmask_b32_e32 v6, v16, v14, vcc
	v_cmp_ne_u32_e32 vcc, 0, v5
	v_cndmask_b32_e32 v5, v7, v6, vcc
	v_xor_b32_e32 v5, v5, v1
	v_sub_co_u32_e32 v7, vcc, v5, v1
                                        ; implicit-def: $vgpr5_vgpr6
	s_andn2_saveexec_b64 s[2:3], s[4:5]
	s_cbranch_execz .LBB5_22
.LBB5_24:                               ;   in Loop: Header=BB5_12 Depth=1
	v_mul_hi_u32 v1, v5, v13
	v_mul_lo_u32 v6, v1, s43
	v_add_u32_e32 v7, 1, v1
	v_sub_u32_e32 v5, v5, v6
	v_subrev_u32_e32 v6, s43, v5
	v_cmp_le_u32_e32 vcc, s43, v5
	v_cndmask_b32_e32 v5, v5, v6, vcc
	v_cndmask_b32_e32 v1, v1, v7, vcc
	v_add_u32_e32 v6, 1, v1
	v_cmp_le_u32_e32 vcc, s43, v5
	v_cndmask_b32_e32 v7, v1, v6, vcc
	s_or_b64 exec, exec, s[2:3]
	s_and_saveexec_b64 s[18:19], s[0:1]
	s_cbranch_execz .LBB5_11
.LBB5_25:                               ;   in Loop: Header=BB5_12 Depth=1
	v_mad_u64_u32 v[3:4], s[2:3], v3, s46, v[4:5]
	v_mul_lo_u32 v6, v9, s13
	v_mov_b32_e32 v1, s34
	v_mul_lo_u32 v4, s10, v3
	v_sub_u32_e32 v3, v7, v3
	v_add_u32_e32 v14, 1, v3
	v_ashrrev_i32_e32 v7, 31, v6
	v_ashrrev_i32_e32 v5, 31, v4
	v_lshlrev_b64 v[3:4], 2, v[4:5]
	v_cvt_f32_i32_e32 v19, v14
	v_add_co_u32_e32 v15, vcc, s33, v3
	v_addc_co_u32_e32 v16, vcc, v1, v4, vcc
	v_lshlrev_b64 v[3:4], 2, v[6:7]
	v_mov_b32_e32 v1, s38
	v_add_co_u32_e32 v17, vcc, s37, v3
	v_addc_co_u32_e32 v18, vcc, v1, v4, vcc
	v_cmp_lt_i32_e64 s[2:3], 0, v14
	s_mov_b64 s[20:21], 0
	v_mov_b32_e32 v1, v0
	s_branch .LBB5_27
.LBB5_26:                               ;   in Loop: Header=BB5_27 Depth=2
	v_add_u32_e32 v1, s39, v1
	v_cmp_le_i32_e32 vcc, s13, v1
	s_or_b64 s[20:21], vcc, s[20:21]
	s_andn2_b64 exec, exec, s[20:21]
	s_cbranch_execz .LBB5_11
.LBB5_27:                               ;   Parent Loop BB5_12 Depth=1
                                        ; =>  This Loop Header: Depth=2
                                        ;       Child Loop BB5_38 Depth 3
                                        ;         Child Loop BB5_41 Depth 4
                                        ;           Child Loop BB5_43 Depth 5
                                        ;             Child Loop BB5_44 Depth 6
	v_mul_hi_u32 v3, v1, v11
	v_mul_lo_u32 v4, v3, s42
	v_add_u32_e32 v5, 1, v3
	v_sub_u32_e32 v4, v1, v4
	v_cmp_le_u32_e32 vcc, s42, v4
	v_cndmask_b32_e32 v3, v3, v5, vcc
	v_subrev_u32_e32 v5, s42, v4
	v_cndmask_b32_e32 v4, v4, v5, vcc
	v_add_u32_e32 v5, 1, v3
	v_cmp_le_u32_e32 vcc, s42, v4
	v_cndmask_b32_e32 v3, v3, v5, vcc
	v_xor_b32_e32 v3, s36, v3
	v_subrev_u32_e32 v20, s36, v3
	v_mad_i64_i32 v[3:4], s[4:5], v20, s44, 0
	v_sub_co_u32_e32 v3, vcc, v1, v3
	v_subb_co_u32_e32 v4, vcc, 0, v4, vcc
	v_mul_lo_u32 v4, v4, s10
	v_mul_lo_u32 v7, v3, s41
	v_mad_u64_u32 v[5:6], s[4:5], v3, s10, 0
	v_mov_b32_e32 v3, v2
	v_add3_u32 v6, v6, v7, v4
	v_or_b32_e32 v4, s36, v6
	v_cmp_ne_u64_e32 vcc, 0, v[3:4]
                                        ; implicit-def: $vgpr3_vgpr4
	s_and_saveexec_b64 s[4:5], vcc
	s_xor_b64 s[22:23], exec, s[4:5]
	s_cbranch_execz .LBB5_29
; %bb.28:                               ;   in Loop: Header=BB5_27 Depth=2
	s_ashr_i32 s24, s36, 31
	s_add_u32 s4, s44, s24
	s_mov_b32 s25, s24
	s_addc_u32 s5, s36, s24
	s_xor_b64 s[26:27], s[4:5], s[24:25]
	v_cvt_f32_u32_e32 v3, s26
	v_cvt_f32_u32_e32 v4, s27
	s_sub_u32 s17, 0, s26
	s_subb_u32 s25, 0, s27
	v_ashrrev_i32_e32 v7, 31, v6
	v_mac_f32_e32 v3, 0x4f800000, v4
	v_rcp_f32_e32 v3, v3
	v_mul_f32_e32 v3, 0x5f7ffffc, v3
	v_mul_f32_e32 v4, 0x2f800000, v3
	v_trunc_f32_e32 v4, v4
	v_mac_f32_e32 v3, 0xcf800000, v4
	v_cvt_u32_f32_e32 v4, v4
	v_cvt_u32_f32_e32 v3, v3
	v_readfirstlane_b32 s28, v4
	v_readfirstlane_b32 s4, v3
	s_mul_i32 s5, s17, s28
	s_mul_hi_u32 s30, s17, s4
	s_mul_i32 s29, s25, s4
	s_add_i32 s5, s30, s5
	s_add_i32 s5, s5, s29
	s_mul_i32 s31, s17, s4
	s_mul_i32 s30, s4, s5
	s_mul_hi_u32 s49, s4, s31
	s_mul_hi_u32 s29, s4, s5
	s_add_u32 s30, s49, s30
	s_addc_u32 s29, 0, s29
	s_mul_hi_u32 s50, s28, s31
	s_mul_i32 s31, s28, s31
	s_add_u32 s30, s30, s31
	s_mul_hi_u32 s49, s28, s5
	s_addc_u32 s29, s29, s50
	s_addc_u32 s30, s49, 0
	s_mul_i32 s5, s28, s5
	s_add_u32 s5, s29, s5
	s_addc_u32 s29, 0, s30
	s_add_u32 s30, s4, s5
	s_cselect_b64 s[4:5], -1, 0
	s_cmp_lg_u64 s[4:5], 0
	s_addc_u32 s28, s28, s29
	s_mul_i32 s4, s17, s28
	s_mul_hi_u32 s5, s17, s30
	s_add_i32 s4, s5, s4
	s_mul_i32 s25, s25, s30
	s_add_i32 s4, s4, s25
	s_mul_i32 s17, s17, s30
	s_mul_hi_u32 s25, s28, s17
	s_mul_i32 s29, s28, s17
	s_mul_i32 s49, s30, s4
	s_mul_hi_u32 s17, s30, s17
	s_mul_hi_u32 s31, s30, s4
	s_add_u32 s17, s17, s49
	s_addc_u32 s31, 0, s31
	s_add_u32 s17, s17, s29
	s_mul_hi_u32 s5, s28, s4
	s_addc_u32 s17, s31, s25
	s_addc_u32 s5, s5, 0
	s_mul_i32 s4, s28, s4
	s_add_u32 s4, s17, s4
	s_addc_u32 s17, 0, s5
	s_add_u32 s25, s30, s4
	s_cselect_b64 s[4:5], -1, 0
	s_cmp_lg_u64 s[4:5], 0
	v_add_co_u32_e32 v3, vcc, v5, v7
	s_addc_u32 s17, s28, s17
	v_xor_b32_e32 v8, v3, v7
	v_addc_co_u32_e32 v5, vcc, v6, v7, vcc
	v_mad_u64_u32 v[3:4], s[4:5], v8, s17, 0
	v_mul_hi_u32 v6, v8, s25
	v_xor_b32_e32 v21, v5, v7
	v_add_co_u32_e32 v22, vcc, v6, v3
	v_addc_co_u32_e32 v23, vcc, 0, v4, vcc
	v_mad_u64_u32 v[3:4], s[4:5], v21, s25, 0
	v_mad_u64_u32 v[5:6], s[4:5], v21, s17, 0
	v_add_co_u32_e32 v3, vcc, v22, v3
	v_addc_co_u32_e32 v3, vcc, v23, v4, vcc
	v_addc_co_u32_e32 v4, vcc, 0, v6, vcc
	v_add_co_u32_e32 v5, vcc, v3, v5
	v_addc_co_u32_e32 v6, vcc, 0, v4, vcc
	v_mul_lo_u32 v22, s27, v5
	v_mul_lo_u32 v23, s26, v6
	v_mad_u64_u32 v[3:4], s[4:5], s26, v5, 0
	v_add3_u32 v4, v4, v23, v22
	v_sub_u32_e32 v22, v21, v4
	v_mov_b32_e32 v23, s27
	v_sub_co_u32_e32 v3, vcc, v8, v3
	v_subb_co_u32_e64 v8, s[4:5], v22, v23, vcc
	v_subrev_co_u32_e64 v22, s[4:5], s26, v3
	v_subbrev_co_u32_e64 v8, s[4:5], 0, v8, s[4:5]
	v_cmp_le_u32_e64 s[4:5], s27, v8
	v_cndmask_b32_e64 v23, 0, -1, s[4:5]
	v_cmp_le_u32_e64 s[4:5], s26, v22
	v_cndmask_b32_e64 v22, 0, -1, s[4:5]
	v_cmp_eq_u32_e64 s[4:5], s27, v8
	v_cndmask_b32_e64 v8, v23, v22, s[4:5]
	v_add_co_u32_e64 v22, s[4:5], 2, v5
	v_subb_co_u32_e32 v4, vcc, v21, v4, vcc
	v_addc_co_u32_e64 v23, s[4:5], 0, v6, s[4:5]
	v_cmp_le_u32_e32 vcc, s27, v4
	v_add_co_u32_e64 v24, s[4:5], 1, v5
	v_cndmask_b32_e64 v21, 0, -1, vcc
	v_cmp_le_u32_e32 vcc, s26, v3
	v_addc_co_u32_e64 v25, s[4:5], 0, v6, s[4:5]
	v_cndmask_b32_e64 v3, 0, -1, vcc
	v_cmp_eq_u32_e32 vcc, s27, v4
	v_cmp_ne_u32_e64 s[4:5], 0, v8
	v_cndmask_b32_e32 v3, v21, v3, vcc
	v_cndmask_b32_e64 v8, v25, v23, s[4:5]
	v_cmp_ne_u32_e32 vcc, 0, v3
	v_cndmask_b32_e64 v4, v24, v22, s[4:5]
	v_cndmask_b32_e32 v3, v6, v8, vcc
	v_cndmask_b32_e32 v4, v5, v4, vcc
	v_xor_b32_e32 v5, s24, v7
	v_xor_b32_e32 v6, v3, v5
	;; [unrolled: 1-line block ×3, first 2 shown]
	v_sub_co_u32_e32 v3, vcc, v3, v5
	v_subb_co_u32_e32 v4, vcc, v6, v5, vcc
                                        ; implicit-def: $vgpr5_vgpr6
.LBB5_29:                               ;   in Loop: Header=BB5_27 Depth=2
	s_andn2_saveexec_b64 s[4:5], s[22:23]
	s_cbranch_execz .LBB5_31
; %bb.30:                               ;   in Loop: Header=BB5_27 Depth=2
	v_cvt_f32_u32_e32 v3, s44
	s_sub_i32 s17, 0, s44
	v_rcp_iflag_f32_e32 v3, v3
	v_mul_f32_e32 v3, 0x4f7ffffe, v3
	v_cvt_u32_f32_e32 v3, v3
	v_mul_lo_u32 v4, s17, v3
	v_mul_hi_u32 v4, v3, v4
	v_add_u32_e32 v3, v3, v4
	v_mul_hi_u32 v3, v5, v3
	v_mul_lo_u32 v4, v3, s44
	v_add_u32_e32 v6, 1, v3
	v_sub_u32_e32 v4, v5, v4
	v_subrev_u32_e32 v5, s44, v4
	v_cmp_le_u32_e32 vcc, s44, v4
	v_cndmask_b32_e32 v4, v4, v5, vcc
	v_cndmask_b32_e32 v3, v3, v6, vcc
	v_add_u32_e32 v5, 1, v3
	v_cmp_le_u32_e32 vcc, s44, v4
	v_cndmask_b32_e32 v3, v3, v5, vcc
	v_mov_b32_e32 v4, v2
.LBB5_31:                               ;   in Loop: Header=BB5_27 Depth=2
	s_or_b64 exec, exec, s[4:5]
	v_add_u32_e32 v7, 1, v1
	v_mad_u64_u32 v[5:6], s[4:5], v7, s10, -1
	v_mad_u64_u32 v[6:7], s[4:5], v7, s41, v[6:7]
	v_mov_b32_e32 v7, v2
	v_or_b32_e32 v8, s36, v6
	v_cmp_ne_u64_e32 vcc, 0, v[7:8]
                                        ; implicit-def: $vgpr7_vgpr8
	s_and_saveexec_b64 s[4:5], vcc
	s_xor_b64 s[22:23], exec, s[4:5]
	s_cbranch_execnz .LBB5_34
; %bb.32:                               ;   in Loop: Header=BB5_27 Depth=2
	s_andn2_saveexec_b64 s[4:5], s[22:23]
	s_cbranch_execnz .LBB5_35
.LBB5_33:                               ;   in Loop: Header=BB5_27 Depth=2
	s_or_b64 exec, exec, s[4:5]
	s_andn2_b64 vcc, exec, s[6:7]
	s_cbranch_vccz .LBB5_36
	s_branch .LBB5_26
.LBB5_34:                               ;   in Loop: Header=BB5_27 Depth=2
	s_ashr_i32 s24, s36, 31
	s_add_u32 s4, s44, s24
	s_mov_b32 s25, s24
	s_addc_u32 s5, s36, s24
	s_xor_b64 s[26:27], s[4:5], s[24:25]
	v_cvt_f32_u32_e32 v7, s26
	v_cvt_f32_u32_e32 v8, s27
	s_sub_u32 s17, 0, s26
	s_subb_u32 s25, 0, s27
	v_ashrrev_i32_e32 v21, 31, v6
	v_mac_f32_e32 v7, 0x4f800000, v8
	v_rcp_f32_e32 v7, v7
	v_add_co_u32_e32 v5, vcc, v5, v21
	v_xor_b32_e32 v22, v5, v21
	v_mul_f32_e32 v7, 0x5f7ffffc, v7
	v_mul_f32_e32 v8, 0x2f800000, v7
	v_trunc_f32_e32 v8, v8
	v_mac_f32_e32 v7, 0xcf800000, v8
	v_cvt_u32_f32_e32 v8, v8
	v_cvt_u32_f32_e32 v7, v7
	v_readfirstlane_b32 s28, v8
	v_readfirstlane_b32 s4, v7
	s_mul_i32 s5, s17, s28
	s_mul_hi_u32 s30, s17, s4
	s_mul_i32 s29, s25, s4
	s_add_i32 s5, s30, s5
	s_add_i32 s5, s5, s29
	s_mul_i32 s31, s17, s4
	s_mul_i32 s30, s4, s5
	s_mul_hi_u32 s49, s4, s31
	s_mul_hi_u32 s29, s4, s5
	s_add_u32 s30, s49, s30
	s_addc_u32 s29, 0, s29
	s_mul_hi_u32 s50, s28, s31
	s_mul_i32 s31, s28, s31
	s_add_u32 s30, s30, s31
	s_mul_hi_u32 s49, s28, s5
	s_addc_u32 s29, s29, s50
	s_addc_u32 s30, s49, 0
	s_mul_i32 s5, s28, s5
	s_add_u32 s5, s29, s5
	s_addc_u32 s29, 0, s30
	s_add_u32 s30, s4, s5
	s_cselect_b64 s[4:5], -1, 0
	s_cmp_lg_u64 s[4:5], 0
	s_addc_u32 s28, s28, s29
	s_mul_i32 s4, s17, s28
	s_mul_hi_u32 s5, s17, s30
	s_add_i32 s4, s5, s4
	s_mul_i32 s25, s25, s30
	s_add_i32 s4, s4, s25
	s_mul_i32 s17, s17, s30
	s_mul_hi_u32 s25, s28, s17
	s_mul_i32 s29, s28, s17
	s_mul_i32 s49, s30, s4
	s_mul_hi_u32 s17, s30, s17
	s_mul_hi_u32 s31, s30, s4
	s_add_u32 s17, s17, s49
	s_addc_u32 s31, 0, s31
	s_add_u32 s17, s17, s29
	s_mul_hi_u32 s5, s28, s4
	s_addc_u32 s17, s31, s25
	s_addc_u32 s5, s5, 0
	s_mul_i32 s4, s28, s4
	s_add_u32 s4, s17, s4
	s_addc_u32 s17, 0, s5
	s_add_u32 s25, s30, s4
	s_cselect_b64 s[4:5], -1, 0
	s_cmp_lg_u64 s[4:5], 0
	s_addc_u32 s17, s28, s17
	v_addc_co_u32_e32 v7, vcc, v6, v21, vcc
	v_mad_u64_u32 v[5:6], s[4:5], v22, s17, 0
	v_mul_hi_u32 v8, v22, s25
	v_xor_b32_e32 v23, v7, v21
	v_add_co_u32_e32 v24, vcc, v8, v5
	v_addc_co_u32_e32 v25, vcc, 0, v6, vcc
	v_mad_u64_u32 v[5:6], s[4:5], v23, s25, 0
	v_mad_u64_u32 v[7:8], s[4:5], v23, s17, 0
	v_add_co_u32_e32 v5, vcc, v24, v5
	v_addc_co_u32_e32 v5, vcc, v25, v6, vcc
	v_addc_co_u32_e32 v6, vcc, 0, v8, vcc
	v_add_co_u32_e32 v7, vcc, v5, v7
	v_addc_co_u32_e32 v5, vcc, 0, v6, vcc
	v_mul_lo_u32 v8, s27, v7
	v_mul_lo_u32 v24, s26, v5
	v_mad_u64_u32 v[5:6], s[4:5], s26, v7, 0
	v_add3_u32 v6, v6, v24, v8
	v_sub_u32_e32 v8, v23, v6
	v_mov_b32_e32 v24, s27
	v_sub_co_u32_e32 v5, vcc, v22, v5
	v_subb_co_u32_e64 v8, s[4:5], v8, v24, vcc
	v_subrev_co_u32_e64 v22, s[4:5], s26, v5
	v_subbrev_co_u32_e64 v8, s[4:5], 0, v8, s[4:5]
	v_cmp_le_u32_e64 s[4:5], s27, v8
	v_subb_co_u32_e32 v6, vcc, v23, v6, vcc
	v_cndmask_b32_e64 v24, 0, -1, s[4:5]
	v_cmp_le_u32_e64 s[4:5], s26, v22
	v_cmp_le_u32_e32 vcc, s27, v6
	v_cndmask_b32_e64 v22, 0, -1, s[4:5]
	v_cmp_eq_u32_e64 s[4:5], s27, v8
	v_cndmask_b32_e64 v23, 0, -1, vcc
	v_cmp_le_u32_e32 vcc, s26, v5
	v_cndmask_b32_e64 v8, v24, v22, s[4:5]
	v_cndmask_b32_e64 v5, 0, -1, vcc
	v_cmp_eq_u32_e32 vcc, s27, v6
	v_add_co_u32_e64 v22, s[4:5], 2, v7
	v_add_co_u32_e64 v24, s[4:5], 1, v7
	v_cndmask_b32_e32 v5, v23, v5, vcc
	v_cmp_ne_u32_e32 vcc, 0, v8
	v_cndmask_b32_e32 v6, v24, v22, vcc
	v_cmp_ne_u32_e32 vcc, 0, v5
	v_cndmask_b32_e32 v5, v7, v6, vcc
	v_xor_b32_e32 v6, s24, v21
	v_xor_b32_e32 v5, v5, v6
	v_sub_co_u32_e32 v7, vcc, v5, v6
                                        ; implicit-def: $vgpr5_vgpr6
	s_andn2_saveexec_b64 s[4:5], s[22:23]
	s_cbranch_execz .LBB5_33
.LBB5_35:                               ;   in Loop: Header=BB5_27 Depth=2
	v_cvt_f32_u32_e32 v6, s44
	s_sub_i32 s17, 0, s44
	v_rcp_iflag_f32_e32 v6, v6
	v_mul_f32_e32 v6, 0x4f7ffffe, v6
	v_cvt_u32_f32_e32 v6, v6
	v_mul_lo_u32 v7, s17, v6
	v_mul_hi_u32 v7, v6, v7
	v_add_u32_e32 v6, v6, v7
	v_mul_hi_u32 v6, v5, v6
	v_mul_lo_u32 v7, v6, s44
	v_add_u32_e32 v8, 1, v6
	v_sub_u32_e32 v5, v5, v7
	v_subrev_u32_e32 v7, s44, v5
	v_cmp_le_u32_e32 vcc, s44, v5
	v_cndmask_b32_e32 v5, v5, v7, vcc
	v_cndmask_b32_e32 v6, v6, v8, vcc
	v_add_u32_e32 v7, 1, v6
	v_cmp_le_u32_e32 vcc, s44, v5
	v_cndmask_b32_e32 v7, v6, v7, vcc
	s_or_b64 exec, exec, s[4:5]
	s_andn2_b64 vcc, exec, s[6:7]
	s_cbranch_vccnz .LBB5_26
.LBB5_36:                               ;   in Loop: Header=BB5_27 Depth=2
	v_lshlrev_b64 v[5:6], 2, v[1:2]
	v_mad_i64_i32 v[3:4], s[4:5], v20, s10, v[3:4]
	v_add_co_u32_e32 v5, vcc, v17, v5
	v_addc_co_u32_e32 v6, vcc, v18, v6, vcc
	global_load_dword v5, v[5:6], off
	v_sub_u32_e32 v4, v7, v3
	v_add_u32_e32 v7, 1, v4
	s_mov_b32 s17, 0
	s_waitcnt vmcnt(0)
	v_div_scale_f32 v6, s[4:5], v10, v10, v5
	v_div_scale_f32 v8, vcc, v5, v10, v5
	v_rcp_f32_e32 v21, v6
	v_fma_f32 v22, -v6, v21, 1.0
	v_fmac_f32_e32 v21, v22, v21
	v_mul_f32_e32 v22, v8, v21
	v_fma_f32 v23, -v6, v22, v8
	v_fmac_f32_e32 v22, v23, v21
	v_fma_f32 v6, -v6, v22, v8
	v_div_fmas_f32 v6, v6, v21, v22
	v_div_fixup_f32 v5, v6, v10, v5
	v_div_scale_f32 v6, s[4:5], v19, v19, v5
	v_div_scale_f32 v8, vcc, v5, v19, v5
	v_rcp_f32_e32 v21, v6
	v_fma_f32 v22, -v6, v21, 1.0
	v_fmac_f32_e32 v21, v22, v21
	v_mul_f32_e32 v22, v8, v21
	v_fma_f32 v23, -v6, v22, v8
	v_fmac_f32_e32 v22, v23, v21
	v_fma_f32 v6, -v6, v22, v8
	v_div_fmas_f32 v6, v6, v21, v22
	v_cvt_f32_i32_e32 v21, v7
	v_div_fixup_f32 v6, v6, v19, v5
	v_div_scale_f32 v4, s[4:5], v21, v21, v6
	v_div_scale_f32 v5, vcc, v6, v21, v6
	v_rcp_f32_e32 v8, v4
	v_fma_f32 v20, -v4, v8, 1.0
	v_fmac_f32_e32 v8, v20, v8
	v_mul_f32_e32 v20, v5, v8
	v_fma_f32 v22, -v4, v20, v5
	v_fmac_f32_e32 v20, v22, v8
	v_fma_f32 v4, -v4, v20, v5
	v_div_fmas_f32 v22, v4, v8, v20
	v_mov_b32_e32 v4, v2
	v_mov_b32_e32 v5, v3
	v_ashrrev_i64 v[3:4], 30, v[4:5]
	v_add_co_u32_e32 v8, vcc, v15, v3
	v_addc_co_u32_e32 v20, vcc, v16, v4, vcc
	v_cmp_lt_i32_e32 vcc, 0, v7
	v_div_fixup_f32 v21, v22, v21, v6
	s_branch .LBB5_38
.LBB5_37:                               ;   in Loop: Header=BB5_38 Depth=3
	s_or_b64 exec, exec, s[22:23]
	v_mov_b32_e32 v3, s15
	s_add_i32 s17, s17, 1
	v_add_co_u32_e64 v8, s[4:5], s14, v8
	s_cmp_lt_i32 s17, s11
	v_addc_co_u32_e64 v20, s[4:5], v20, v3, s[4:5]
	s_cbranch_scc0 .LBB5_26
.LBB5_38:                               ;   Parent Loop BB5_12 Depth=1
                                        ;     Parent Loop BB5_27 Depth=2
                                        ; =>    This Loop Header: Depth=3
                                        ;         Child Loop BB5_41 Depth 4
                                        ;           Child Loop BB5_43 Depth 5
                                        ;             Child Loop BB5_44 Depth 6
	s_and_saveexec_b64 s[22:23], s[2:3]
	s_cbranch_execz .LBB5_37
; %bb.39:                               ;   in Loop: Header=BB5_38 Depth=3
	s_mov_b32 s49, 0
	s_mov_b64 s[24:25], 0
	s_branch .LBB5_41
.LBB5_40:                               ;   in Loop: Header=BB5_41 Depth=4
	s_or_b64 exec, exec, s[26:27]
	s_add_i32 s49, s49, 1
	v_cmp_ge_i32_e64 s[4:5], s49, v14
	s_or_b64 s[24:25], s[4:5], s[24:25]
	s_andn2_b64 exec, exec, s[24:25]
	s_cbranch_execz .LBB5_37
.LBB5_41:                               ;   Parent Loop BB5_12 Depth=1
                                        ;     Parent Loop BB5_27 Depth=2
                                        ;       Parent Loop BB5_38 Depth=3
                                        ; =>      This Loop Header: Depth=4
                                        ;           Child Loop BB5_43 Depth 5
                                        ;             Child Loop BB5_44 Depth 6
	s_and_saveexec_b64 s[26:27], vcc
	s_cbranch_execz .LBB5_40
; %bb.42:                               ;   in Loop: Header=BB5_41 Depth=4
	s_mul_i32 s50, s49, s10
	s_mov_b32 s51, 0
	s_mov_b64 s[28:29], 0
.LBB5_43:                               ;   Parent Loop BB5_12 Depth=1
                                        ;     Parent Loop BB5_27 Depth=2
                                        ;       Parent Loop BB5_38 Depth=3
                                        ;         Parent Loop BB5_41 Depth=4
                                        ; =>        This Loop Header: Depth=5
                                        ;             Child Loop BB5_44 Depth 6
	s_add_i32 s4, s51, s50
	s_ashr_i32 s5, s4, 31
	s_lshl_b64 s[4:5], s[4:5], 2
	v_mov_b32_e32 v4, s5
	v_add_co_u32_e64 v3, s[4:5], s4, v8
	v_addc_co_u32_e64 v4, s[4:5], v20, v4, s[4:5]
	global_load_dword v6, v[3:4], off
	s_mov_b64 s[30:31], 0
.LBB5_44:                               ;   Parent Loop BB5_12 Depth=1
                                        ;     Parent Loop BB5_27 Depth=2
                                        ;       Parent Loop BB5_38 Depth=3
                                        ;         Parent Loop BB5_41 Depth=4
                                        ;           Parent Loop BB5_43 Depth=5
                                        ; =>          This Inner Loop Header: Depth=6
	s_waitcnt vmcnt(0)
	v_add_f32_e32 v5, v6, v21
	global_atomic_cmpswap v5, v[3:4], v[5:6], off glc
	s_waitcnt vmcnt(0)
	v_cmp_eq_u32_e64 s[4:5], v5, v6
	s_or_b64 s[30:31], s[4:5], s[30:31]
	v_mov_b32_e32 v6, v5
	s_andn2_b64 exec, exec, s[30:31]
	s_cbranch_execnz .LBB5_44
; %bb.45:                               ;   in Loop: Header=BB5_43 Depth=5
	s_or_b64 exec, exec, s[30:31]
	s_add_i32 s51, s51, 1
	v_cmp_ge_i32_e64 s[4:5], s51, v7
	s_or_b64 s[28:29], s[4:5], s[28:29]
	s_andn2_b64 exec, exec, s[28:29]
	s_cbranch_execnz .LBB5_43
	s_branch .LBB5_40
.LBB5_46:
	s_endpgm
.LBB5_47:
                                        ; implicit-def: $sgpr14_sgpr15
	s_branch .LBB5_2
.LBB5_48:
                                        ; implicit-def: $sgpr16_sgpr17
	s_branch .LBB5_5
.LBB5_49:
                                        ; implicit-def: $sgpr22_sgpr23
	s_load_dword s3, s[4:5], 0x3c
	s_andn2_b64 vcc, exec, s[20:21]
	s_cbranch_vccz .LBB5_8
	s_branch .LBB5_9
	.section	.rodata,"a",@progbits
	.p2align	6, 0x0
	.amdhsa_kernel _ZN2at6native12_GLOBAL__N_130atomicadaptiveaveragegradinputIfEEvPT_PKS3_iiiiiil
		.amdhsa_group_segment_fixed_size 0
		.amdhsa_private_segment_fixed_size 0
		.amdhsa_kernarg_size 304
		.amdhsa_user_sgpr_count 6
		.amdhsa_user_sgpr_private_segment_buffer 1
		.amdhsa_user_sgpr_dispatch_ptr 0
		.amdhsa_user_sgpr_queue_ptr 0
		.amdhsa_user_sgpr_kernarg_segment_ptr 1
		.amdhsa_user_sgpr_dispatch_id 0
		.amdhsa_user_sgpr_flat_scratch_init 0
		.amdhsa_user_sgpr_private_segment_size 0
		.amdhsa_uses_dynamic_stack 0
		.amdhsa_system_sgpr_private_segment_wavefront_offset 0
		.amdhsa_system_sgpr_workgroup_id_x 1
		.amdhsa_system_sgpr_workgroup_id_y 1
		.amdhsa_system_sgpr_workgroup_id_z 0
		.amdhsa_system_sgpr_workgroup_info 0
		.amdhsa_system_vgpr_workitem_id 1
		.amdhsa_next_free_vgpr 26
		.amdhsa_next_free_sgpr 52
		.amdhsa_reserve_vcc 1
		.amdhsa_reserve_flat_scratch 0
		.amdhsa_float_round_mode_32 0
		.amdhsa_float_round_mode_16_64 0
		.amdhsa_float_denorm_mode_32 3
		.amdhsa_float_denorm_mode_16_64 3
		.amdhsa_dx10_clamp 1
		.amdhsa_ieee_mode 1
		.amdhsa_fp16_overflow 0
		.amdhsa_exception_fp_ieee_invalid_op 0
		.amdhsa_exception_fp_denorm_src 0
		.amdhsa_exception_fp_ieee_div_zero 0
		.amdhsa_exception_fp_ieee_overflow 0
		.amdhsa_exception_fp_ieee_underflow 0
		.amdhsa_exception_fp_ieee_inexact 0
		.amdhsa_exception_int_div_zero 0
	.end_amdhsa_kernel
	.section	.text._ZN2at6native12_GLOBAL__N_130atomicadaptiveaveragegradinputIfEEvPT_PKS3_iiiiiil,"axG",@progbits,_ZN2at6native12_GLOBAL__N_130atomicadaptiveaveragegradinputIfEEvPT_PKS3_iiiiiil,comdat
.Lfunc_end5:
	.size	_ZN2at6native12_GLOBAL__N_130atomicadaptiveaveragegradinputIfEEvPT_PKS3_iiiiiil, .Lfunc_end5-_ZN2at6native12_GLOBAL__N_130atomicadaptiveaveragegradinputIfEEvPT_PKS3_iiiiiil
                                        ; -- End function
	.set _ZN2at6native12_GLOBAL__N_130atomicadaptiveaveragegradinputIfEEvPT_PKS3_iiiiiil.num_vgpr, 26
	.set _ZN2at6native12_GLOBAL__N_130atomicadaptiveaveragegradinputIfEEvPT_PKS3_iiiiiil.num_agpr, 0
	.set _ZN2at6native12_GLOBAL__N_130atomicadaptiveaveragegradinputIfEEvPT_PKS3_iiiiiil.numbered_sgpr, 52
	.set _ZN2at6native12_GLOBAL__N_130atomicadaptiveaveragegradinputIfEEvPT_PKS3_iiiiiil.num_named_barrier, 0
	.set _ZN2at6native12_GLOBAL__N_130atomicadaptiveaveragegradinputIfEEvPT_PKS3_iiiiiil.private_seg_size, 0
	.set _ZN2at6native12_GLOBAL__N_130atomicadaptiveaveragegradinputIfEEvPT_PKS3_iiiiiil.uses_vcc, 1
	.set _ZN2at6native12_GLOBAL__N_130atomicadaptiveaveragegradinputIfEEvPT_PKS3_iiiiiil.uses_flat_scratch, 0
	.set _ZN2at6native12_GLOBAL__N_130atomicadaptiveaveragegradinputIfEEvPT_PKS3_iiiiiil.has_dyn_sized_stack, 0
	.set _ZN2at6native12_GLOBAL__N_130atomicadaptiveaveragegradinputIfEEvPT_PKS3_iiiiiil.has_recursion, 0
	.set _ZN2at6native12_GLOBAL__N_130atomicadaptiveaveragegradinputIfEEvPT_PKS3_iiiiiil.has_indirect_call, 0
	.section	.AMDGPU.csdata,"",@progbits
; Kernel info:
; codeLenInByte = 6456
; TotalNumSgprs: 56
; NumVgprs: 26
; ScratchSize: 0
; MemoryBound: 0
; FloatMode: 240
; IeeeMode: 1
; LDSByteSize: 0 bytes/workgroup (compile time only)
; SGPRBlocks: 6
; VGPRBlocks: 6
; NumSGPRsForWavesPerEU: 56
; NumVGPRsForWavesPerEU: 26
; Occupancy: 9
; WaveLimiterHint : 0
; COMPUTE_PGM_RSRC2:SCRATCH_EN: 0
; COMPUTE_PGM_RSRC2:USER_SGPR: 6
; COMPUTE_PGM_RSRC2:TRAP_HANDLER: 0
; COMPUTE_PGM_RSRC2:TGID_X_EN: 1
; COMPUTE_PGM_RSRC2:TGID_Y_EN: 1
; COMPUTE_PGM_RSRC2:TGID_Z_EN: 0
; COMPUTE_PGM_RSRC2:TIDIG_COMP_CNT: 1
	.section	.text._ZN2at6native12_GLOBAL__N_130atomicadaptiveaveragegradinputIN3c104HalfEEEvPT_PKS5_iiiiiil,"axG",@progbits,_ZN2at6native12_GLOBAL__N_130atomicadaptiveaveragegradinputIN3c104HalfEEEvPT_PKS5_iiiiiil,comdat
	.globl	_ZN2at6native12_GLOBAL__N_130atomicadaptiveaveragegradinputIN3c104HalfEEEvPT_PKS5_iiiiiil ; -- Begin function _ZN2at6native12_GLOBAL__N_130atomicadaptiveaveragegradinputIN3c104HalfEEEvPT_PKS5_iiiiiil
	.p2align	8
	.type	_ZN2at6native12_GLOBAL__N_130atomicadaptiveaveragegradinputIN3c104HalfEEEvPT_PKS5_iiiiiil,@function
_ZN2at6native12_GLOBAL__N_130atomicadaptiveaveragegradinputIN3c104HalfEEEvPT_PKS5_iiiiiil: ; @_ZN2at6native12_GLOBAL__N_130atomicadaptiveaveragegradinputIN3c104HalfEEEvPT_PKS5_iiiiiil
; %bb.0:
	s_load_dwordx8 s[8:15], s[4:5], 0x10
	s_mov_b32 s16, 0
	s_waitcnt lgkmcnt(0)
	s_add_u32 s0, s14, s6
	s_addc_u32 s1, s15, 0
	s_ashr_i32 s3, s11, 31
	s_mov_b32 s2, s11
	s_or_b64 s[14:15], s[0:1], s[2:3]
	s_mov_b32 s17, s15
	s_cmp_lg_u64 s[16:17], 0
	s_cbranch_scc0 .LBB6_51
; %bb.1:
	s_ashr_i32 s14, s3, 31
	s_add_u32 s16, s2, s14
	s_mov_b32 s15, s14
	s_addc_u32 s17, s3, s14
	s_xor_b64 s[18:19], s[16:17], s[14:15]
	v_cvt_f32_u32_e32 v2, s18
	v_cvt_f32_u32_e32 v3, s19
	s_sub_u32 s6, 0, s18
	s_subb_u32 s11, 0, s19
	v_madmk_f32 v2, v3, 0x4f800000, v2
	v_rcp_f32_e32 v2, v2
	v_mul_f32_e32 v2, 0x5f7ffffc, v2
	v_mul_f32_e32 v3, 0x2f800000, v2
	v_trunc_f32_e32 v3, v3
	v_madmk_f32 v2, v3, 0xcf800000, v2
	v_cvt_u32_f32_e32 v3, v3
	v_cvt_u32_f32_e32 v2, v2
	v_readfirstlane_b32 s22, v3
	v_readfirstlane_b32 s20, v2
	s_mul_i32 s21, s6, s22
	s_mul_hi_u32 s24, s6, s20
	s_mul_i32 s23, s11, s20
	s_add_i32 s21, s24, s21
	s_add_i32 s21, s21, s23
	s_mul_i32 s25, s6, s20
	s_mul_i32 s24, s20, s21
	s_mul_hi_u32 s26, s20, s25
	s_mul_hi_u32 s23, s20, s21
	s_add_u32 s24, s26, s24
	s_addc_u32 s23, 0, s23
	s_mul_hi_u32 s27, s22, s25
	s_mul_i32 s25, s22, s25
	s_add_u32 s24, s24, s25
	s_mul_hi_u32 s26, s22, s21
	s_addc_u32 s23, s23, s27
	s_addc_u32 s24, s26, 0
	s_mul_i32 s21, s22, s21
	s_add_u32 s21, s23, s21
	s_addc_u32 s23, 0, s24
	s_add_u32 s24, s20, s21
	s_cselect_b64 s[20:21], -1, 0
	s_cmp_lg_u64 s[20:21], 0
	s_addc_u32 s22, s22, s23
	s_mul_i32 s20, s6, s22
	s_mul_hi_u32 s21, s6, s24
	s_add_i32 s20, s21, s20
	s_mul_i32 s11, s11, s24
	s_add_i32 s20, s20, s11
	s_mul_i32 s6, s6, s24
	s_mul_hi_u32 s21, s22, s6
	s_mul_i32 s23, s22, s6
	s_mul_i32 s26, s24, s20
	s_mul_hi_u32 s6, s24, s6
	s_mul_hi_u32 s25, s24, s20
	s_add_u32 s6, s6, s26
	s_addc_u32 s25, 0, s25
	s_add_u32 s6, s6, s23
	s_mul_hi_u32 s11, s22, s20
	s_addc_u32 s6, s25, s21
	s_addc_u32 s11, s11, 0
	s_mul_i32 s20, s22, s20
	s_add_u32 s6, s6, s20
	s_addc_u32 s11, 0, s11
	s_add_u32 s6, s24, s6
	s_cselect_b64 s[20:21], -1, 0
	s_cmp_lg_u64 s[20:21], 0
	s_addc_u32 s11, s22, s11
	s_ashr_i32 s20, s1, 31
	s_add_u32 s22, s0, s20
	s_mov_b32 s21, s20
	s_addc_u32 s23, s1, s20
	s_xor_b64 s[22:23], s[22:23], s[20:21]
	s_mul_i32 s25, s22, s11
	s_mul_hi_u32 s26, s22, s6
	s_mul_hi_u32 s24, s22, s11
	s_add_u32 s25, s26, s25
	s_addc_u32 s24, 0, s24
	s_mul_hi_u32 s27, s23, s6
	s_mul_i32 s6, s23, s6
	s_add_u32 s6, s25, s6
	s_mul_hi_u32 s26, s23, s11
	s_addc_u32 s6, s24, s27
	s_addc_u32 s24, s26, 0
	s_mul_i32 s11, s23, s11
	s_add_u32 s6, s6, s11
	s_addc_u32 s11, 0, s24
	s_mul_i32 s24, s18, s11
	s_mul_hi_u32 s25, s18, s6
	s_add_i32 s24, s25, s24
	s_mul_i32 s25, s19, s6
	s_add_i32 s28, s24, s25
	s_sub_i32 s26, s23, s28
	s_mul_i32 s24, s18, s6
	s_sub_u32 s22, s22, s24
	s_cselect_b64 s[24:25], -1, 0
	s_cmp_lg_u64 s[24:25], 0
	s_subb_u32 s29, s26, s19
	s_sub_u32 s30, s22, s18
	s_cselect_b64 s[26:27], -1, 0
	s_cmp_lg_u64 s[26:27], 0
	s_subb_u32 s26, s29, 0
	s_cmp_ge_u32 s26, s19
	s_cselect_b32 s27, -1, 0
	s_cmp_ge_u32 s30, s18
	s_cselect_b32 s29, -1, 0
	s_cmp_eq_u32 s26, s19
	s_cselect_b32 s26, s29, s27
	s_add_u32 s27, s6, 1
	s_addc_u32 s29, s11, 0
	s_add_u32 s30, s6, 2
	s_addc_u32 s31, s11, 0
	s_cmp_lg_u32 s26, 0
	s_cselect_b32 s26, s30, s27
	s_cselect_b32 s27, s31, s29
	s_cmp_lg_u64 s[24:25], 0
	s_subb_u32 s23, s23, s28
	s_cmp_ge_u32 s23, s19
	s_cselect_b32 s24, -1, 0
	s_cmp_ge_u32 s22, s18
	s_cselect_b32 s18, -1, 0
	s_cmp_eq_u32 s23, s19
	s_cselect_b32 s18, s18, s24
	s_cmp_lg_u32 s18, 0
	s_cselect_b32 s19, s27, s11
	s_cselect_b32 s18, s26, s6
	s_xor_b64 s[14:15], s[20:21], s[14:15]
	s_xor_b64 s[18:19], s[18:19], s[14:15]
	s_sub_u32 s14, s18, s14
	s_subb_u32 s15, s19, s15
	s_cbranch_execnz .LBB6_3
.LBB6_2:
	v_cvt_f32_u32_e32 v2, s2
	s_sub_i32 s6, 0, s2
	s_mov_b32 s15, 0
	v_rcp_iflag_f32_e32 v2, v2
	v_mul_f32_e32 v2, 0x4f7ffffe, v2
	v_cvt_u32_f32_e32 v2, v2
	v_readfirstlane_b32 s11, v2
	s_mul_i32 s6, s6, s11
	s_mul_hi_u32 s6, s11, s6
	s_add_i32 s11, s11, s6
	s_mul_hi_u32 s6, s0, s11
	s_mul_i32 s14, s6, s2
	s_sub_i32 s14, s0, s14
	s_add_i32 s11, s6, 1
	s_sub_i32 s16, s14, s2
	s_cmp_ge_u32 s14, s2
	s_cselect_b32 s6, s11, s6
	s_cselect_b32 s14, s16, s14
	s_add_i32 s11, s6, 1
	s_cmp_ge_u32 s14, s2
	s_cselect_b32 s14, s11, s6
.LBB6_3:
	s_mul_i32 s6, s14, s3
	s_mul_hi_u32 s11, s14, s2
	s_add_i32 s6, s11, s6
	s_mul_i32 s11, s15, s2
	s_add_i32 s6, s6, s11
	s_mul_i32 s11, s14, s2
	s_sub_u32 s11, s0, s11
	s_subb_u32 s15, s1, s6
	s_abs_i32 s6, s2
	v_cvt_f32_u32_e32 v2, s6
	s_sub_i32 s19, 0, s6
	s_abs_i32 s18, s11
	s_xor_b32 s16, s11, s2
	v_rcp_iflag_f32_e32 v2, v2
	s_ashr_i32 s24, s8, 31
	s_ashr_i32 s17, s16, 31
	s_mov_b32 s16, 0
	v_mul_f32_e32 v2, 0x4f7ffffe, v2
	v_cvt_u32_f32_e32 v2, v2
	v_readfirstlane_b32 s20, v2
	s_mul_i32 s19, s19, s20
	s_mul_hi_u32 s19, s20, s19
	s_add_i32 s20, s20, s19
	s_mul_hi_u32 s19, s18, s20
	s_mul_i32 s20, s19, s6
	s_sub_i32 s18, s18, s20
	s_add_i32 s20, s19, 1
	s_sub_i32 s21, s18, s6
	s_cmp_ge_u32 s18, s6
	s_cselect_b32 s19, s20, s19
	s_cselect_b32 s18, s21, s18
	s_add_i32 s20, s19, 1
	s_cmp_ge_u32 s18, s6
	s_cselect_b32 s6, s20, s19
	s_xor_b32 s6, s6, s17
	s_sub_i32 s6, s6, s17
	s_mul_i32 s17, s6, s2
	s_sub_i32 s17, s11, s17
	s_mul_hi_i32 s19, s17, s8
	s_mul_i32 s18, s17, s8
	s_or_b64 s[20:21], s[18:19], s[2:3]
	s_mov_b32 s17, s21
	s_cmp_lg_u64 s[16:17], 0
	s_cbranch_scc0 .LBB6_52
; %bb.4:
	s_ashr_i32 s16, s3, 31
	s_add_u32 s20, s2, s16
	s_mov_b32 s17, s16
	s_addc_u32 s21, s3, s16
	s_xor_b64 s[22:23], s[20:21], s[16:17]
	v_cvt_f32_u32_e32 v2, s22
	v_cvt_f32_u32_e32 v3, s23
	s_sub_u32 s25, 0, s22
	s_subb_u32 s28, 0, s23
	v_madmk_f32 v2, v3, 0x4f800000, v2
	v_rcp_f32_e32 v2, v2
	v_mul_f32_e32 v2, 0x5f7ffffc, v2
	v_mul_f32_e32 v3, 0x2f800000, v2
	v_trunc_f32_e32 v3, v3
	v_madmk_f32 v2, v3, 0xcf800000, v2
	v_cvt_u32_f32_e32 v3, v3
	v_cvt_u32_f32_e32 v2, v2
	v_readfirstlane_b32 s29, v3
	v_readfirstlane_b32 s26, v2
	s_mul_i32 s27, s25, s29
	s_mul_hi_u32 s31, s25, s26
	s_mul_i32 s30, s28, s26
	s_add_i32 s27, s31, s27
	s_add_i32 s27, s27, s30
	s_mul_i32 s33, s25, s26
	s_mul_i32 s31, s26, s27
	s_mul_hi_u32 s34, s26, s33
	s_mul_hi_u32 s30, s26, s27
	s_add_u32 s31, s34, s31
	s_addc_u32 s30, 0, s30
	s_mul_hi_u32 s35, s29, s33
	s_mul_i32 s33, s29, s33
	s_add_u32 s31, s31, s33
	s_mul_hi_u32 s34, s29, s27
	s_addc_u32 s30, s30, s35
	s_addc_u32 s31, s34, 0
	s_mul_i32 s27, s29, s27
	s_add_u32 s27, s30, s27
	s_addc_u32 s30, 0, s31
	s_add_u32 s31, s26, s27
	s_cselect_b64 s[26:27], -1, 0
	s_cmp_lg_u64 s[26:27], 0
	s_addc_u32 s29, s29, s30
	s_mul_i32 s26, s25, s29
	s_mul_hi_u32 s27, s25, s31
	s_add_i32 s26, s27, s26
	s_mul_i32 s28, s28, s31
	s_add_i32 s26, s26, s28
	s_mul_i32 s25, s25, s31
	s_mul_hi_u32 s28, s29, s25
	s_mul_i32 s30, s29, s25
	s_mul_i32 s34, s31, s26
	s_mul_hi_u32 s25, s31, s25
	s_mul_hi_u32 s33, s31, s26
	s_add_u32 s25, s25, s34
	s_addc_u32 s33, 0, s33
	s_add_u32 s25, s25, s30
	s_mul_hi_u32 s27, s29, s26
	s_addc_u32 s25, s33, s28
	s_addc_u32 s27, s27, 0
	s_mul_i32 s26, s29, s26
	s_add_u32 s25, s25, s26
	s_addc_u32 s28, 0, s27
	s_add_u32 s25, s31, s25
	s_cselect_b64 s[26:27], -1, 0
	s_cmp_lg_u64 s[26:27], 0
	s_addc_u32 s30, s29, s28
	s_ashr_i32 s26, s19, 31
	s_add_u32 s28, s18, s26
	s_mov_b32 s27, s26
	s_addc_u32 s29, s19, s26
	s_xor_b64 s[28:29], s[28:29], s[26:27]
	s_mul_i32 s31, s28, s30
	s_mul_hi_u32 s33, s28, s25
	s_mul_hi_u32 s19, s28, s30
	s_add_u32 s31, s33, s31
	s_addc_u32 s19, 0, s19
	s_mul_hi_u32 s34, s29, s25
	s_mul_i32 s25, s29, s25
	s_add_u32 s25, s31, s25
	s_mul_hi_u32 s33, s29, s30
	s_addc_u32 s19, s19, s34
	s_addc_u32 s25, s33, 0
	s_mul_i32 s30, s29, s30
	s_add_u32 s19, s19, s30
	s_addc_u32 s25, 0, s25
	s_mul_i32 s30, s22, s25
	s_mul_hi_u32 s31, s22, s19
	s_add_i32 s30, s31, s30
	s_mul_i32 s31, s23, s19
	s_add_i32 s33, s30, s31
	s_sub_i32 s34, s29, s33
	s_mul_i32 s30, s22, s19
	s_sub_u32 s28, s28, s30
	s_cselect_b64 s[30:31], -1, 0
	s_cmp_lg_u64 s[30:31], 0
	s_subb_u32 s36, s34, s23
	s_sub_u32 s37, s28, s22
	s_cselect_b64 s[34:35], -1, 0
	s_cmp_lg_u64 s[34:35], 0
	s_subb_u32 s34, s36, 0
	s_cmp_ge_u32 s34, s23
	s_cselect_b32 s35, -1, 0
	s_cmp_ge_u32 s37, s22
	s_cselect_b32 s36, -1, 0
	s_cmp_eq_u32 s34, s23
	s_cselect_b32 s34, s36, s35
	s_add_u32 s35, s19, 1
	s_addc_u32 s36, s25, 0
	s_add_u32 s37, s19, 2
	s_addc_u32 s38, s25, 0
	s_cmp_lg_u32 s34, 0
	s_cselect_b32 s34, s37, s35
	s_cselect_b32 s35, s38, s36
	s_cmp_lg_u64 s[30:31], 0
	s_subb_u32 s29, s29, s33
	s_cmp_ge_u32 s29, s23
	s_cselect_b32 s30, -1, 0
	s_cmp_ge_u32 s28, s22
	s_cselect_b32 s22, -1, 0
	s_cmp_eq_u32 s29, s23
	s_cselect_b32 s22, s22, s30
	s_cmp_lg_u32 s22, 0
	s_cselect_b32 s23, s35, s25
	s_cselect_b32 s22, s34, s19
	s_xor_b64 s[16:17], s[26:27], s[16:17]
	s_xor_b64 s[22:23], s[22:23], s[16:17]
	s_sub_u32 s16, s22, s16
	s_cbranch_execnz .LBB6_6
.LBB6_5:
	v_cvt_f32_u32_e32 v2, s2
	s_sub_i32 s16, 0, s2
	v_rcp_iflag_f32_e32 v2, v2
	v_mul_f32_e32 v2, 0x4f7ffffe, v2
	v_cvt_u32_f32_e32 v2, v2
	v_readfirstlane_b32 s17, v2
	s_mul_i32 s16, s16, s17
	s_mul_hi_u32 s16, s17, s16
	s_add_i32 s17, s17, s16
	s_mul_hi_u32 s16, s18, s17
	s_mul_i32 s19, s16, s2
	s_sub_i32 s18, s18, s19
	s_add_i32 s17, s16, 1
	s_sub_i32 s19, s18, s2
	s_cmp_ge_u32 s18, s2
	s_cselect_b32 s16, s17, s16
	s_cselect_b32 s18, s19, s18
	s_add_i32 s17, s16, 1
	s_cmp_ge_u32 s18, s2
	s_cselect_b32 s16, s17, s16
.LBB6_6:
	s_add_u32 s11, s11, 1
	s_addc_u32 s15, s15, 0
	s_mul_i32 s17, s11, s24
	s_mul_hi_u32 s18, s11, s8
	s_add_i32 s17, s18, s17
	s_mul_i32 s15, s15, s8
	s_add_i32 s17, s17, s15
	s_mul_i32 s11, s11, s8
	s_add_u32 s18, s11, -1
	s_addc_u32 s19, s17, -1
	s_or_b64 s[20:21], s[18:19], s[2:3]
	s_mov_b32 s20, 0
	s_cmp_lg_u64 s[20:21], 0
	s_mov_b64 s[20:21], -1
	s_cbranch_scc0 .LBB6_53
; %bb.7:
	s_ashr_i32 s22, s3, 31
	s_add_u32 s20, s2, s22
	s_mov_b32 s23, s22
	s_addc_u32 s21, s3, s22
	s_xor_b64 s[24:25], s[20:21], s[22:23]
	v_cvt_f32_u32_e32 v2, s24
	v_cvt_f32_u32_e32 v3, s25
	s_sub_u32 s3, 0, s24
	s_subb_u32 s11, 0, s25
	v_madmk_f32 v2, v3, 0x4f800000, v2
	v_rcp_f32_e32 v2, v2
	v_mul_f32_e32 v2, 0x5f7ffffc, v2
	v_mul_f32_e32 v3, 0x2f800000, v2
	v_trunc_f32_e32 v3, v3
	v_madmk_f32 v2, v3, 0xcf800000, v2
	v_cvt_u32_f32_e32 v3, v3
	v_cvt_u32_f32_e32 v2, v2
	v_readfirstlane_b32 s15, v3
	v_readfirstlane_b32 s17, v2
	s_mul_i32 s26, s3, s15
	s_mul_hi_u32 s28, s3, s17
	s_mul_i32 s27, s11, s17
	s_add_i32 s26, s28, s26
	s_add_i32 s26, s26, s27
	s_mul_i32 s29, s3, s17
	s_mul_i32 s28, s17, s26
	s_mul_hi_u32 s30, s17, s29
	s_mul_hi_u32 s27, s17, s26
	s_add_u32 s28, s30, s28
	s_addc_u32 s27, 0, s27
	s_mul_hi_u32 s31, s15, s29
	s_mul_i32 s29, s15, s29
	s_add_u32 s28, s28, s29
	s_mul_hi_u32 s30, s15, s26
	s_addc_u32 s27, s27, s31
	s_addc_u32 s28, s30, 0
	s_mul_i32 s26, s15, s26
	s_add_u32 s26, s27, s26
	s_addc_u32 s28, 0, s28
	s_add_u32 s17, s17, s26
	s_cselect_b64 s[26:27], -1, 0
	s_cmp_lg_u64 s[26:27], 0
	s_addc_u32 s15, s15, s28
	s_mul_i32 s26, s3, s15
	s_mul_hi_u32 s27, s3, s17
	s_add_i32 s26, s27, s26
	s_mul_i32 s11, s11, s17
	s_add_i32 s26, s26, s11
	s_mul_i32 s3, s3, s17
	s_mul_hi_u32 s27, s15, s3
	s_mul_i32 s28, s15, s3
	s_mul_i32 s30, s17, s26
	s_mul_hi_u32 s3, s17, s3
	s_mul_hi_u32 s29, s17, s26
	s_add_u32 s3, s3, s30
	s_addc_u32 s29, 0, s29
	s_add_u32 s3, s3, s28
	s_mul_hi_u32 s11, s15, s26
	s_addc_u32 s3, s29, s27
	s_addc_u32 s11, s11, 0
	s_mul_i32 s26, s15, s26
	s_add_u32 s3, s3, s26
	s_addc_u32 s11, 0, s11
	s_add_u32 s3, s17, s3
	s_cselect_b64 s[26:27], -1, 0
	s_cmp_lg_u64 s[26:27], 0
	s_addc_u32 s11, s15, s11
	s_ashr_i32 s26, s19, 31
	s_add_u32 s28, s18, s26
	s_mov_b32 s27, s26
	s_addc_u32 s29, s19, s26
	s_xor_b64 s[28:29], s[28:29], s[26:27]
	s_mul_i32 s17, s28, s11
	s_mul_hi_u32 s19, s28, s3
	s_mul_hi_u32 s15, s28, s11
	s_add_u32 s17, s19, s17
	s_addc_u32 s15, 0, s15
	s_mul_hi_u32 s30, s29, s3
	s_mul_i32 s3, s29, s3
	s_add_u32 s3, s17, s3
	s_mul_hi_u32 s19, s29, s11
	s_addc_u32 s3, s15, s30
	s_addc_u32 s15, s19, 0
	s_mul_i32 s11, s29, s11
	s_add_u32 s3, s3, s11
	s_addc_u32 s11, 0, s15
	s_mul_i32 s15, s24, s11
	s_mul_hi_u32 s17, s24, s3
	s_add_i32 s15, s17, s15
	s_mul_i32 s17, s25, s3
	s_add_i32 s15, s15, s17
	s_sub_i32 s17, s29, s15
	s_mul_i32 s19, s24, s3
	s_sub_u32 s19, s28, s19
	s_cselect_b64 s[30:31], -1, 0
	s_cmp_lg_u64 s[30:31], 0
	s_subb_u32 s17, s17, s25
	s_sub_u32 s28, s19, s24
	s_cselect_b64 s[34:35], -1, 0
	s_cmp_lg_u64 s[34:35], 0
	s_subb_u32 s17, s17, 0
	s_cmp_ge_u32 s17, s25
	s_cselect_b32 s33, -1, 0
	s_cmp_ge_u32 s28, s24
	s_cselect_b32 s28, -1, 0
	s_cmp_eq_u32 s17, s25
	s_cselect_b32 s17, s28, s33
	s_add_u32 s28, s3, 1
	s_addc_u32 s33, s11, 0
	s_add_u32 s34, s3, 2
	s_addc_u32 s35, s11, 0
	s_cmp_lg_u32 s17, 0
	s_cselect_b32 s17, s34, s28
	s_cselect_b32 s28, s35, s33
	s_cmp_lg_u64 s[30:31], 0
	s_subb_u32 s15, s29, s15
	s_cmp_ge_u32 s15, s25
	s_cselect_b32 s29, -1, 0
	s_cmp_ge_u32 s19, s24
	s_cselect_b32 s19, -1, 0
	s_cmp_eq_u32 s15, s25
	s_cselect_b32 s15, s19, s29
	s_cmp_lg_u32 s15, 0
	s_cselect_b32 s25, s28, s11
	s_cselect_b32 s24, s17, s3
	s_xor_b64 s[22:23], s[26:27], s[22:23]
	s_xor_b64 s[24:25], s[24:25], s[22:23]
	s_sub_u32 s22, s24, s22
	s_load_dword s3, s[4:5], 0x3c
	s_cbranch_execnz .LBB6_9
.LBB6_8:
	v_cvt_f32_u32_e32 v2, s2
	s_sub_i32 s11, 0, s2
	v_rcp_iflag_f32_e32 v2, v2
	v_mul_f32_e32 v2, 0x4f7ffffe, v2
	v_cvt_u32_f32_e32 v2, v2
	v_readfirstlane_b32 s15, v2
	s_mul_i32 s11, s11, s15
	s_mul_hi_u32 s11, s15, s11
	s_add_i32 s15, s15, s11
	s_mul_hi_u32 s11, s18, s15
	s_mul_i32 s17, s11, s2
	s_sub_i32 s17, s18, s17
	s_add_i32 s15, s11, 1
	s_sub_i32 s18, s17, s2
	s_cmp_ge_u32 s17, s2
	s_cselect_b32 s11, s15, s11
	s_cselect_b32 s17, s18, s17
	s_add_i32 s15, s11, 1
	s_cmp_ge_u32 s17, s2
	s_cselect_b32 s22, s15, s11
.LBB6_9:
	s_waitcnt lgkmcnt(0)
	s_lshr_b32 s17, s3, 16
	s_mul_i32 s7, s7, s17
	v_add_u32_e32 v11, s7, v1
	v_cmp_gt_i32_e32 vcc, s12, v11
	s_and_saveexec_b64 s[18:19], vcc
	s_cbranch_execz .LBB6_50
; %bb.10:
	s_mul_i32 s6, s6, s8
	s_add_i32 s2, s16, s6
	s_load_dword s49, s[4:5], 0x34
	s_load_dwordx4 s[24:27], s[4:5], 0x0
	s_mul_i32 s4, s8, s14
	s_sub_i32 s11, s22, s2
	s_add_i32 s4, s4, s2
	s_mul_i32 s2, s10, s9
	s_mul_i32 s4, s2, s4
	s_ashr_i32 s5, s4, 31
	s_add_i32 s11, s11, 1
	s_lshl_b64 s[4:5], s[4:5], 1
	s_waitcnt lgkmcnt(0)
	s_add_u32 s33, s24, s4
	s_addc_u32 s38, s25, s5
	s_mul_i32 s5, s13, s12
	s_mul_hi_i32 s4, s13, s12
	s_mul_i32 s1, s5, s1
	s_mul_hi_u32 s6, s5, s0
	s_add_i32 s1, s6, s1
	s_mul_i32 s4, s4, s0
	s_add_i32 s1, s1, s4
	s_mul_i32 s0, s5, s0
	s_ashr_i32 s39, s12, 31
	s_ashr_i32 s40, s13, 31
	s_lshl_b64 s[0:1], s[0:1], 1
	s_add_u32 s41, s26, s0
	s_addc_u32 s42, s27, s1
	s_and_b32 s43, s3, 0xffff
	s_ashr_i32 s44, s9, 31
	s_ashr_i32 s45, s10, 31
	s_cmp_gt_i32 s11, 0
	s_cselect_b64 s[14:15], -1, 0
	s_abs_i32 s46, s13
	v_cvt_f32_u32_e32 v1, s46
	s_ashr_i32 s51, s12, 31
	s_add_i32 s3, s12, s51
	s_xor_b32 s52, s3, s51
	v_rcp_iflag_f32_e32 v1, v1
	s_mov_b32 s47, s12
	v_cvt_f32_u32_e32 v3, s52
	v_cvt_f32_i32_e32 v2, s11
	v_mul_f32_e32 v1, 0x4f7ffffe, v1
	v_cvt_f32_u32_e32 v4, s47
	v_cvt_u32_f32_e32 v1, v1
	v_rcp_iflag_f32_e32 v3, v3
	s_sub_i32 s3, 0, s46
	v_cvt_f16_f32_e32 v12, v2
	v_rcp_iflag_f32_e32 v2, v4
	v_mul_lo_u32 v5, s3, v1
	v_mul_f32_e32 v3, 0x4f7ffffe, v3
	v_cvt_u32_f32_e32 v3, v3
	v_mul_f32_e32 v2, 0x4f7ffffe, v2
	v_mul_hi_u32 v4, v1, v5
	v_cvt_u32_f32_e32 v5, v2
	s_sub_i32 s3, 0, s52
	v_mul_lo_u32 v2, s3, v3
	s_sub_i32 s3, 0, s12
	v_mul_lo_u32 v6, s3, v5
	v_add_u32_e32 v13, v1, v4
	v_mul_hi_u32 v1, v3, v2
	s_ashr_i32 s3, s2, 31
	v_mul_hi_u32 v4, v5, v6
	s_mov_b32 s48, s13
	s_mul_i32 s49, s49, s17
	s_mov_b32 s50, s9
	v_cmp_gt_i32_e64 s[0:1], s13, v0
	v_mov_b32_e32 v2, 0
	s_mov_b64 s[16:17], 0
	v_add_u32_e32 v14, v3, v1
	v_add_u32_e32 v15, v5, v4
	s_mov_b32 s53, 0xffff0000
	s_lshl_b64 s[18:19], s[2:3], 1
	s_ashr_i32 s20, s39, 31
	s_branch .LBB6_12
.LBB6_11:                               ;   in Loop: Header=BB6_12 Depth=1
	s_or_b64 exec, exec, s[22:23]
	v_add_u32_e32 v11, s49, v11
	v_cmp_le_i32_e32 vcc, s12, v11
	s_or_b64 s[16:17], vcc, s[16:17]
	s_andn2_b64 exec, exec, s[16:17]
	s_cbranch_execz .LBB6_50
.LBB6_12:                               ; =>This Loop Header: Depth=1
                                        ;     Child Loop BB6_27 Depth 2
                                        ;       Child Loop BB6_38 Depth 3
                                        ;         Child Loop BB6_41 Depth 4
                                        ;           Child Loop BB6_44 Depth 5
                                        ;             Child Loop BB6_46 Depth 6
	v_ashrrev_i32_e32 v8, 31, v11
	v_or_b32_e32 v4, s39, v8
	v_mov_b32_e32 v3, v2
	v_cmp_ne_u64_e32 vcc, 0, v[3:4]
                                        ; implicit-def: $vgpr3_vgpr4
	s_and_saveexec_b64 s[2:3], vcc
	s_xor_b64 s[2:3], exec, s[2:3]
	s_cbranch_execz .LBB6_14
; %bb.13:                               ;   in Loop: Header=BB6_12 Depth=1
	v_ashrrev_i32_e32 v1, 31, v11
	v_add_u32_e32 v3, v11, v1
	v_xor_b32_e32 v3, v3, v1
	v_mul_hi_u32 v4, v3, v14
	v_xor_b32_e32 v1, s51, v1
	v_mul_lo_u32 v5, v4, s52
	v_add_u32_e32 v6, 1, v4
	v_sub_u32_e32 v3, v3, v5
	v_subrev_u32_e32 v5, s52, v3
	v_cmp_le_u32_e32 vcc, s52, v3
	v_cndmask_b32_e32 v3, v3, v5, vcc
	v_cndmask_b32_e32 v4, v4, v6, vcc
	v_add_u32_e32 v5, 1, v4
	v_cmp_le_u32_e32 vcc, s52, v3
	v_cndmask_b32_e32 v3, v4, v5, vcc
	v_xor_b32_e32 v3, v3, v1
	v_sub_u32_e32 v3, v3, v1
	v_ashrrev_i32_e32 v4, 31, v3
.LBB6_14:                               ;   in Loop: Header=BB6_12 Depth=1
	s_andn2_saveexec_b64 s[2:3], s[2:3]
	s_cbranch_execz .LBB6_16
; %bb.15:                               ;   in Loop: Header=BB6_12 Depth=1
	v_mul_hi_u32 v1, v11, v15
	v_mul_lo_u32 v3, v1, s47
	v_add_u32_e32 v4, 1, v1
	v_sub_u32_e32 v3, v11, v3
	v_subrev_u32_e32 v5, s47, v3
	v_cmp_le_u32_e32 vcc, s47, v3
	v_cndmask_b32_e32 v3, v3, v5, vcc
	v_cndmask_b32_e32 v1, v1, v4, vcc
	v_add_u32_e32 v4, 1, v1
	v_cmp_le_u32_e32 vcc, s47, v3
	v_cndmask_b32_e32 v1, v1, v4, vcc
	v_mov_b32_e32 v4, v2
	v_mov_b32_e32 v3, v1
.LBB6_16:                               ;   in Loop: Header=BB6_12 Depth=1
	s_or_b64 exec, exec, s[2:3]
	v_mul_lo_u32 v1, v4, s47
	v_mul_lo_u32 v6, v3, s39
	v_mad_u64_u32 v[4:5], s[2:3], v3, s47, 0
	v_add3_u32 v1, v5, v6, v1
	v_sub_co_u32_e32 v4, vcc, v11, v4
	v_subb_co_u32_e32 v1, vcc, v8, v1, vcc
	v_mul_lo_u32 v1, v1, s50
	v_mul_lo_u32 v5, v4, s44
	v_mad_u64_u32 v[6:7], s[2:3], v4, s50, 0
	v_mov_b32_e32 v4, v2
	v_add3_u32 v7, v7, v5, v1
	v_or_b32_e32 v5, s39, v7
	v_cmp_ne_u64_e32 vcc, 0, v[4:5]
                                        ; implicit-def: $vgpr4_vgpr5
	s_and_saveexec_b64 s[2:3], vcc
	s_xor_b64 s[4:5], exec, s[2:3]
	s_cbranch_execz .LBB6_18
; %bb.17:                               ;   in Loop: Header=BB6_12 Depth=1
	s_add_u32 s2, s47, s20
	s_mov_b32 s21, s20
	s_addc_u32 s3, s39, s20
	s_xor_b64 s[6:7], s[2:3], s[20:21]
	v_cvt_f32_u32_e32 v1, s6
	v_cvt_f32_u32_e32 v4, s7
	s_sub_u32 s8, 0, s6
	s_subb_u32 s9, 0, s7
	v_mac_f32_e32 v1, 0x4f800000, v4
	v_rcp_f32_e32 v1, v1
	v_mul_f32_e32 v1, 0x5f7ffffc, v1
	v_mul_f32_e32 v4, 0x2f800000, v1
	v_trunc_f32_e32 v4, v4
	v_mac_f32_e32 v1, 0xcf800000, v4
	v_cvt_u32_f32_e32 v4, v4
	v_cvt_u32_f32_e32 v1, v1
	v_readfirstlane_b32 s21, v4
	v_readfirstlane_b32 s2, v1
	s_mul_i32 s3, s8, s21
	s_mul_hi_u32 s23, s8, s2
	s_mul_i32 s22, s9, s2
	s_add_i32 s3, s23, s3
	s_add_i32 s3, s3, s22
	s_mul_i32 s24, s8, s2
	s_mul_i32 s23, s2, s3
	s_mul_hi_u32 s25, s2, s24
	s_mul_hi_u32 s22, s2, s3
	s_add_u32 s23, s25, s23
	s_addc_u32 s22, 0, s22
	s_mul_hi_u32 s26, s21, s24
	s_mul_i32 s24, s21, s24
	s_add_u32 s23, s23, s24
	s_mul_hi_u32 s25, s21, s3
	s_addc_u32 s22, s22, s26
	s_addc_u32 s23, s25, 0
	s_mul_i32 s3, s21, s3
	s_add_u32 s3, s22, s3
	s_addc_u32 s22, 0, s23
	s_add_u32 s23, s2, s3
	s_cselect_b64 s[2:3], -1, 0
	s_cmp_lg_u64 s[2:3], 0
	s_addc_u32 s21, s21, s22
	s_mul_i32 s2, s8, s21
	s_mul_hi_u32 s3, s8, s23
	s_add_i32 s2, s3, s2
	s_mul_i32 s9, s9, s23
	s_add_i32 s2, s2, s9
	s_mul_i32 s8, s8, s23
	s_mul_hi_u32 s9, s21, s8
	s_mul_i32 s22, s21, s8
	s_mul_i32 s25, s23, s2
	s_mul_hi_u32 s8, s23, s8
	s_mul_hi_u32 s24, s23, s2
	s_add_u32 s8, s8, s25
	s_addc_u32 s24, 0, s24
	s_add_u32 s8, s8, s22
	s_mul_hi_u32 s3, s21, s2
	s_addc_u32 s8, s24, s9
	s_addc_u32 s3, s3, 0
	s_mul_i32 s2, s21, s2
	s_add_u32 s2, s8, s2
	s_addc_u32 s8, 0, s3
	s_add_u32 s9, s23, s2
	s_cselect_b64 s[2:3], -1, 0
	v_ashrrev_i32_e32 v1, 31, v7
	s_cmp_lg_u64 s[2:3], 0
	v_add_co_u32_e32 v4, vcc, v6, v1
	s_addc_u32 s8, s21, s8
	v_xor_b32_e32 v9, v4, v1
	v_addc_co_u32_e32 v6, vcc, v7, v1, vcc
	v_mad_u64_u32 v[4:5], s[2:3], v9, s8, 0
	v_mul_hi_u32 v7, v9, s9
	v_xor_b32_e32 v10, v6, v1
	v_xor_b32_e32 v1, s20, v1
	v_add_co_u32_e32 v16, vcc, v7, v4
	v_addc_co_u32_e32 v17, vcc, 0, v5, vcc
	v_mad_u64_u32 v[4:5], s[2:3], v10, s9, 0
	v_mad_u64_u32 v[6:7], s[2:3], v10, s8, 0
	v_add_co_u32_e32 v4, vcc, v16, v4
	v_addc_co_u32_e32 v4, vcc, v17, v5, vcc
	v_addc_co_u32_e32 v5, vcc, 0, v7, vcc
	v_add_co_u32_e32 v6, vcc, v4, v6
	v_addc_co_u32_e32 v4, vcc, 0, v5, vcc
	v_mul_lo_u32 v7, s7, v6
	v_mul_lo_u32 v16, s6, v4
	v_mad_u64_u32 v[4:5], s[2:3], s6, v6, 0
	v_add3_u32 v5, v5, v16, v7
	v_sub_u32_e32 v7, v10, v5
	v_mov_b32_e32 v16, s7
	v_sub_co_u32_e32 v4, vcc, v9, v4
	v_subb_co_u32_e64 v7, s[2:3], v7, v16, vcc
	v_subrev_co_u32_e64 v9, s[2:3], s6, v4
	v_subbrev_co_u32_e64 v7, s[2:3], 0, v7, s[2:3]
	v_cmp_le_u32_e64 s[2:3], s7, v7
	v_subb_co_u32_e32 v5, vcc, v10, v5, vcc
	v_cndmask_b32_e64 v16, 0, -1, s[2:3]
	v_cmp_le_u32_e64 s[2:3], s6, v9
	v_cmp_le_u32_e32 vcc, s7, v5
	v_cndmask_b32_e64 v9, 0, -1, s[2:3]
	v_cmp_eq_u32_e64 s[2:3], s7, v7
	v_cndmask_b32_e64 v10, 0, -1, vcc
	v_cmp_le_u32_e32 vcc, s6, v4
	v_cndmask_b32_e64 v7, v16, v9, s[2:3]
	v_cndmask_b32_e64 v4, 0, -1, vcc
	v_cmp_eq_u32_e32 vcc, s7, v5
	v_add_co_u32_e64 v9, s[2:3], 2, v6
	v_add_co_u32_e64 v16, s[2:3], 1, v6
	v_cndmask_b32_e32 v4, v10, v4, vcc
	v_cmp_ne_u32_e32 vcc, 0, v7
	v_cndmask_b32_e32 v5, v16, v9, vcc
	v_cmp_ne_u32_e32 vcc, 0, v4
	v_cndmask_b32_e32 v4, v6, v5, vcc
	v_xor_b32_e32 v4, v4, v1
	v_sub_co_u32_e32 v4, vcc, v4, v1
                                        ; implicit-def: $vgpr6_vgpr7
.LBB6_18:                               ;   in Loop: Header=BB6_12 Depth=1
	s_andn2_saveexec_b64 s[2:3], s[4:5]
	s_cbranch_execz .LBB6_20
; %bb.19:                               ;   in Loop: Header=BB6_12 Depth=1
	v_mul_hi_u32 v1, v6, v15
	v_mul_lo_u32 v4, v1, s47
	v_add_u32_e32 v5, 1, v1
	v_sub_u32_e32 v4, v6, v4
	v_subrev_u32_e32 v6, s47, v4
	v_cmp_le_u32_e32 vcc, s47, v4
	v_cndmask_b32_e32 v4, v4, v6, vcc
	v_cndmask_b32_e32 v1, v1, v5, vcc
	v_add_u32_e32 v5, 1, v1
	v_cmp_le_u32_e32 vcc, s47, v4
	v_cndmask_b32_e32 v4, v1, v5, vcc
.LBB6_20:                               ;   in Loop: Header=BB6_12 Depth=1
	s_or_b64 exec, exec, s[2:3]
	v_add_co_u32_e32 v1, vcc, 1, v11
	v_addc_co_u32_e32 v5, vcc, 0, v8, vcc
	v_mul_lo_u32 v7, v1, s44
	v_mul_lo_u32 v8, v5, s50
	v_mad_u64_u32 v[5:6], s[2:3], v1, s50, -1
	v_add3_u32 v6, v8, v6, v7
	v_or_b32_e32 v8, s39, v6
	v_mov_b32_e32 v7, v2
	v_cmp_ne_u64_e32 vcc, 0, v[7:8]
                                        ; implicit-def: $vgpr7_vgpr8
	s_and_saveexec_b64 s[2:3], vcc
	s_xor_b64 s[4:5], exec, s[2:3]
	s_cbranch_execnz .LBB6_23
; %bb.21:                               ;   in Loop: Header=BB6_12 Depth=1
	s_andn2_saveexec_b64 s[2:3], s[4:5]
	s_cbranch_execnz .LBB6_24
.LBB6_22:                               ;   in Loop: Header=BB6_12 Depth=1
	s_or_b64 exec, exec, s[2:3]
	s_and_saveexec_b64 s[22:23], s[0:1]
	s_cbranch_execz .LBB6_11
	s_branch .LBB6_25
.LBB6_23:                               ;   in Loop: Header=BB6_12 Depth=1
	s_add_u32 s2, s47, s20
	s_mov_b32 s21, s20
	s_addc_u32 s3, s39, s20
	s_xor_b64 s[6:7], s[2:3], s[20:21]
	v_cvt_f32_u32_e32 v1, s6
	v_cvt_f32_u32_e32 v7, s7
	s_sub_u32 s8, 0, s6
	s_subb_u32 s9, 0, s7
	v_mac_f32_e32 v1, 0x4f800000, v7
	v_rcp_f32_e32 v1, v1
	v_mul_f32_e32 v1, 0x5f7ffffc, v1
	v_mul_f32_e32 v7, 0x2f800000, v1
	v_trunc_f32_e32 v7, v7
	v_mac_f32_e32 v1, 0xcf800000, v7
	v_cvt_u32_f32_e32 v7, v7
	v_cvt_u32_f32_e32 v1, v1
	v_readfirstlane_b32 s21, v7
	v_readfirstlane_b32 s2, v1
	s_mul_i32 s3, s8, s21
	s_mul_hi_u32 s23, s8, s2
	s_mul_i32 s22, s9, s2
	s_add_i32 s3, s23, s3
	s_add_i32 s3, s3, s22
	s_mul_i32 s24, s8, s2
	s_mul_i32 s23, s2, s3
	s_mul_hi_u32 s25, s2, s24
	s_mul_hi_u32 s22, s2, s3
	s_add_u32 s23, s25, s23
	s_addc_u32 s22, 0, s22
	s_mul_hi_u32 s26, s21, s24
	s_mul_i32 s24, s21, s24
	s_add_u32 s23, s23, s24
	s_mul_hi_u32 s25, s21, s3
	s_addc_u32 s22, s22, s26
	s_addc_u32 s23, s25, 0
	s_mul_i32 s3, s21, s3
	s_add_u32 s3, s22, s3
	s_addc_u32 s22, 0, s23
	s_add_u32 s23, s2, s3
	s_cselect_b64 s[2:3], -1, 0
	s_cmp_lg_u64 s[2:3], 0
	s_addc_u32 s21, s21, s22
	s_mul_i32 s2, s8, s21
	s_mul_hi_u32 s3, s8, s23
	s_add_i32 s2, s3, s2
	s_mul_i32 s9, s9, s23
	s_add_i32 s2, s2, s9
	s_mul_i32 s8, s8, s23
	s_mul_hi_u32 s9, s21, s8
	s_mul_i32 s22, s21, s8
	s_mul_i32 s25, s23, s2
	s_mul_hi_u32 s8, s23, s8
	s_mul_hi_u32 s24, s23, s2
	s_add_u32 s8, s8, s25
	s_addc_u32 s24, 0, s24
	s_add_u32 s8, s8, s22
	s_mul_hi_u32 s3, s21, s2
	s_addc_u32 s8, s24, s9
	s_addc_u32 s3, s3, 0
	s_mul_i32 s2, s21, s2
	s_add_u32 s2, s8, s2
	s_addc_u32 s8, 0, s3
	s_add_u32 s9, s23, s2
	s_cselect_b64 s[2:3], -1, 0
	v_ashrrev_i32_e32 v1, 31, v6
	s_cmp_lg_u64 s[2:3], 0
	v_add_co_u32_e32 v5, vcc, v5, v1
	s_addc_u32 s8, s21, s8
	v_xor_b32_e32 v9, v5, v1
	v_addc_co_u32_e32 v7, vcc, v6, v1, vcc
	v_mad_u64_u32 v[5:6], s[2:3], v9, s8, 0
	v_mul_hi_u32 v8, v9, s9
	v_xor_b32_e32 v10, v7, v1
	v_xor_b32_e32 v1, s20, v1
	v_add_co_u32_e32 v16, vcc, v8, v5
	v_addc_co_u32_e32 v17, vcc, 0, v6, vcc
	v_mad_u64_u32 v[5:6], s[2:3], v10, s9, 0
	v_mad_u64_u32 v[7:8], s[2:3], v10, s8, 0
	v_add_co_u32_e32 v5, vcc, v16, v5
	v_addc_co_u32_e32 v5, vcc, v17, v6, vcc
	v_addc_co_u32_e32 v6, vcc, 0, v8, vcc
	v_add_co_u32_e32 v7, vcc, v5, v7
	v_addc_co_u32_e32 v5, vcc, 0, v6, vcc
	v_mul_lo_u32 v8, s7, v7
	v_mul_lo_u32 v16, s6, v5
	v_mad_u64_u32 v[5:6], s[2:3], s6, v7, 0
	v_add3_u32 v6, v6, v16, v8
	v_sub_u32_e32 v8, v10, v6
	v_mov_b32_e32 v16, s7
	v_sub_co_u32_e32 v5, vcc, v9, v5
	v_subb_co_u32_e64 v8, s[2:3], v8, v16, vcc
	v_subrev_co_u32_e64 v9, s[2:3], s6, v5
	v_subbrev_co_u32_e64 v8, s[2:3], 0, v8, s[2:3]
	v_cmp_le_u32_e64 s[2:3], s7, v8
	v_subb_co_u32_e32 v6, vcc, v10, v6, vcc
	v_cndmask_b32_e64 v16, 0, -1, s[2:3]
	v_cmp_le_u32_e64 s[2:3], s6, v9
	v_cmp_le_u32_e32 vcc, s7, v6
	v_cndmask_b32_e64 v9, 0, -1, s[2:3]
	v_cmp_eq_u32_e64 s[2:3], s7, v8
	v_cndmask_b32_e64 v10, 0, -1, vcc
	v_cmp_le_u32_e32 vcc, s6, v5
	v_cndmask_b32_e64 v8, v16, v9, s[2:3]
	v_cndmask_b32_e64 v5, 0, -1, vcc
	v_cmp_eq_u32_e32 vcc, s7, v6
	v_add_co_u32_e64 v9, s[2:3], 2, v7
	v_add_co_u32_e64 v16, s[2:3], 1, v7
	v_cndmask_b32_e32 v5, v10, v5, vcc
	v_cmp_ne_u32_e32 vcc, 0, v8
	v_cndmask_b32_e32 v6, v16, v9, vcc
	v_cmp_ne_u32_e32 vcc, 0, v5
	v_cndmask_b32_e32 v5, v7, v6, vcc
	v_xor_b32_e32 v5, v5, v1
	v_sub_co_u32_e32 v7, vcc, v5, v1
                                        ; implicit-def: $vgpr5_vgpr6
	s_andn2_saveexec_b64 s[2:3], s[4:5]
	s_cbranch_execz .LBB6_22
.LBB6_24:                               ;   in Loop: Header=BB6_12 Depth=1
	v_mul_hi_u32 v1, v5, v15
	v_mul_lo_u32 v6, v1, s47
	v_add_u32_e32 v7, 1, v1
	v_sub_u32_e32 v5, v5, v6
	v_subrev_u32_e32 v6, s47, v5
	v_cmp_le_u32_e32 vcc, s47, v5
	v_cndmask_b32_e32 v5, v5, v6, vcc
	v_cndmask_b32_e32 v1, v1, v7, vcc
	v_add_u32_e32 v6, 1, v1
	v_cmp_le_u32_e32 vcc, s47, v5
	v_cndmask_b32_e32 v7, v1, v6, vcc
	s_or_b64 exec, exec, s[2:3]
	s_and_saveexec_b64 s[22:23], s[0:1]
	s_cbranch_execz .LBB6_11
.LBB6_25:                               ;   in Loop: Header=BB6_12 Depth=1
	v_mad_u64_u32 v[3:4], s[2:3], v3, s50, v[4:5]
	v_mul_lo_u32 v6, v11, s13
	v_mov_b32_e32 v1, s38
	v_mul_lo_u32 v4, s10, v3
	v_sub_u32_e32 v3, v7, v3
	v_add_u32_e32 v16, 1, v3
	v_ashrrev_i32_e32 v7, 31, v6
	v_ashrrev_i32_e32 v5, 31, v4
	v_lshlrev_b64 v[3:4], 1, v[4:5]
	v_cvt_f32_i32_e32 v5, v16
	v_add_co_u32_e32 v17, vcc, s33, v3
	v_addc_co_u32_e32 v18, vcc, v1, v4, vcc
	v_lshlrev_b64 v[3:4], 1, v[6:7]
	v_cvt_f16_f32_e32 v21, v5
	v_mov_b32_e32 v1, s42
	v_add_co_u32_e32 v19, vcc, s41, v3
	v_addc_co_u32_e32 v20, vcc, v1, v4, vcc
	v_cmp_lt_i32_e64 s[2:3], 0, v16
	s_mov_b64 s[24:25], 0
	v_mov_b32_e32 v3, v0
	s_branch .LBB6_27
.LBB6_26:                               ;   in Loop: Header=BB6_27 Depth=2
	v_add_u32_e32 v3, s43, v3
	v_cmp_le_i32_e32 vcc, s13, v3
	s_or_b64 s[24:25], vcc, s[24:25]
	s_andn2_b64 exec, exec, s[24:25]
	s_cbranch_execz .LBB6_11
.LBB6_27:                               ;   Parent Loop BB6_12 Depth=1
                                        ; =>  This Loop Header: Depth=2
                                        ;       Child Loop BB6_38 Depth 3
                                        ;         Child Loop BB6_41 Depth 4
                                        ;           Child Loop BB6_44 Depth 5
                                        ;             Child Loop BB6_46 Depth 6
	v_mul_hi_u32 v1, v3, v13
	v_mul_lo_u32 v4, v1, s46
	v_add_u32_e32 v5, 1, v1
	v_sub_u32_e32 v4, v3, v4
	v_cmp_le_u32_e32 vcc, s46, v4
	v_cndmask_b32_e32 v1, v1, v5, vcc
	v_subrev_u32_e32 v5, s46, v4
	v_cndmask_b32_e32 v4, v4, v5, vcc
	v_add_u32_e32 v5, 1, v1
	v_cmp_le_u32_e32 vcc, s46, v4
	v_cndmask_b32_e32 v1, v1, v5, vcc
	v_xor_b32_e32 v1, s40, v1
	v_subrev_u32_e32 v22, s40, v1
	v_mad_i64_i32 v[4:5], s[4:5], v22, s48, 0
	v_sub_co_u32_e32 v1, vcc, v3, v4
	v_subb_co_u32_e32 v4, vcc, 0, v5, vcc
	v_mul_lo_u32 v4, v4, s10
	v_mul_lo_u32 v5, v1, s45
	v_mad_u64_u32 v[7:8], s[4:5], v1, s10, 0
	v_add3_u32 v8, v8, v5, v4
	v_or_b32_e32 v5, s40, v8
	v_mov_b32_e32 v4, v2
	v_cmp_ne_u64_e32 vcc, 0, v[4:5]
                                        ; implicit-def: $vgpr5_vgpr6
	s_and_saveexec_b64 s[4:5], vcc
	s_xor_b64 s[6:7], exec, s[4:5]
	s_cbranch_execz .LBB6_29
; %bb.28:                               ;   in Loop: Header=BB6_27 Depth=2
	s_ashr_i32 s8, s40, 31
	s_add_u32 s4, s48, s8
	s_mov_b32 s9, s8
	s_addc_u32 s5, s40, s8
	s_xor_b64 s[26:27], s[4:5], s[8:9]
	v_cvt_f32_u32_e32 v1, s26
	v_cvt_f32_u32_e32 v5, s27
	s_sub_u32 s9, 0, s26
	s_subb_u32 s21, 0, s27
	v_mac_f32_e32 v1, 0x4f800000, v5
	v_rcp_f32_e32 v1, v1
	v_mul_f32_e32 v1, 0x5f7ffffc, v1
	v_mul_f32_e32 v5, 0x2f800000, v1
	v_trunc_f32_e32 v5, v5
	v_mac_f32_e32 v1, 0xcf800000, v5
	v_cvt_u32_f32_e32 v5, v5
	v_cvt_u32_f32_e32 v1, v1
	v_readfirstlane_b32 s28, v5
	v_readfirstlane_b32 s4, v1
	s_mul_i32 s5, s9, s28
	s_mul_hi_u32 s30, s9, s4
	s_mul_i32 s29, s21, s4
	s_add_i32 s5, s30, s5
	s_add_i32 s5, s5, s29
	s_mul_i32 s31, s9, s4
	s_mul_i32 s30, s4, s5
	s_mul_hi_u32 s34, s4, s31
	s_mul_hi_u32 s29, s4, s5
	s_add_u32 s30, s34, s30
	s_addc_u32 s29, 0, s29
	s_mul_hi_u32 s35, s28, s31
	s_mul_i32 s31, s28, s31
	s_add_u32 s30, s30, s31
	s_mul_hi_u32 s34, s28, s5
	s_addc_u32 s29, s29, s35
	s_addc_u32 s30, s34, 0
	s_mul_i32 s5, s28, s5
	s_add_u32 s5, s29, s5
	s_addc_u32 s29, 0, s30
	s_add_u32 s30, s4, s5
	s_cselect_b64 s[4:5], -1, 0
	s_cmp_lg_u64 s[4:5], 0
	s_addc_u32 s28, s28, s29
	s_mul_i32 s4, s9, s28
	s_mul_hi_u32 s5, s9, s30
	s_add_i32 s4, s5, s4
	s_mul_i32 s21, s21, s30
	s_add_i32 s4, s4, s21
	s_mul_i32 s9, s9, s30
	s_mul_hi_u32 s21, s28, s9
	s_mul_i32 s29, s28, s9
	s_mul_i32 s34, s30, s4
	s_mul_hi_u32 s9, s30, s9
	s_mul_hi_u32 s31, s30, s4
	s_add_u32 s9, s9, s34
	s_addc_u32 s31, 0, s31
	s_add_u32 s9, s9, s29
	s_mul_hi_u32 s5, s28, s4
	s_addc_u32 s9, s31, s21
	s_addc_u32 s5, s5, 0
	s_mul_i32 s4, s28, s4
	s_add_u32 s4, s9, s4
	s_addc_u32 s9, 0, s5
	s_add_u32 s21, s30, s4
	s_cselect_b64 s[4:5], -1, 0
	v_ashrrev_i32_e32 v1, 31, v8
	s_cmp_lg_u64 s[4:5], 0
	v_add_co_u32_e32 v5, vcc, v7, v1
	s_addc_u32 s9, s28, s9
	v_xor_b32_e32 v9, v5, v1
	v_addc_co_u32_e32 v7, vcc, v8, v1, vcc
	v_mad_u64_u32 v[5:6], s[4:5], v9, s9, 0
	v_mul_hi_u32 v8, v9, s21
	v_xor_b32_e32 v10, v7, v1
	v_xor_b32_e32 v1, s8, v1
	v_add_co_u32_e32 v23, vcc, v8, v5
	v_addc_co_u32_e32 v24, vcc, 0, v6, vcc
	v_mad_u64_u32 v[5:6], s[4:5], v10, s21, 0
	v_mad_u64_u32 v[7:8], s[4:5], v10, s9, 0
	v_add_co_u32_e32 v5, vcc, v23, v5
	v_addc_co_u32_e32 v5, vcc, v24, v6, vcc
	v_addc_co_u32_e32 v6, vcc, 0, v8, vcc
	v_add_co_u32_e32 v7, vcc, v5, v7
	v_addc_co_u32_e32 v8, vcc, 0, v6, vcc
	v_mul_lo_u32 v23, s27, v7
	v_mul_lo_u32 v24, s26, v8
	v_mad_u64_u32 v[5:6], s[4:5], s26, v7, 0
	v_add3_u32 v6, v6, v24, v23
	v_sub_u32_e32 v23, v10, v6
	v_mov_b32_e32 v24, s27
	v_sub_co_u32_e32 v5, vcc, v9, v5
	v_subb_co_u32_e64 v9, s[4:5], v23, v24, vcc
	v_subrev_co_u32_e64 v23, s[4:5], s26, v5
	v_subbrev_co_u32_e64 v9, s[4:5], 0, v9, s[4:5]
	v_cmp_le_u32_e64 s[4:5], s27, v9
	v_cndmask_b32_e64 v24, 0, -1, s[4:5]
	v_cmp_le_u32_e64 s[4:5], s26, v23
	v_cndmask_b32_e64 v23, 0, -1, s[4:5]
	v_cmp_eq_u32_e64 s[4:5], s27, v9
	v_cndmask_b32_e64 v9, v24, v23, s[4:5]
	v_add_co_u32_e64 v23, s[4:5], 2, v7
	v_subb_co_u32_e32 v6, vcc, v10, v6, vcc
	v_addc_co_u32_e64 v24, s[4:5], 0, v8, s[4:5]
	v_cmp_le_u32_e32 vcc, s27, v6
	v_add_co_u32_e64 v25, s[4:5], 1, v7
	v_cndmask_b32_e64 v10, 0, -1, vcc
	v_cmp_le_u32_e32 vcc, s26, v5
	v_addc_co_u32_e64 v26, s[4:5], 0, v8, s[4:5]
	v_cndmask_b32_e64 v5, 0, -1, vcc
	v_cmp_eq_u32_e32 vcc, s27, v6
	v_cmp_ne_u32_e64 s[4:5], 0, v9
	v_cndmask_b32_e32 v5, v10, v5, vcc
	v_cndmask_b32_e64 v9, v26, v24, s[4:5]
	v_cmp_ne_u32_e32 vcc, 0, v5
	v_cndmask_b32_e64 v6, v25, v23, s[4:5]
	v_cndmask_b32_e32 v5, v8, v9, vcc
	v_cndmask_b32_e32 v6, v7, v6, vcc
	v_xor_b32_e32 v7, v5, v1
	v_xor_b32_e32 v5, v6, v1
	v_sub_co_u32_e32 v5, vcc, v5, v1
	v_subb_co_u32_e32 v6, vcc, v7, v1, vcc
                                        ; implicit-def: $vgpr7_vgpr8
.LBB6_29:                               ;   in Loop: Header=BB6_27 Depth=2
	s_andn2_saveexec_b64 s[4:5], s[6:7]
	s_cbranch_execz .LBB6_31
; %bb.30:                               ;   in Loop: Header=BB6_27 Depth=2
	v_cvt_f32_u32_e32 v1, s48
	s_sub_i32 s6, 0, s48
	v_rcp_iflag_f32_e32 v1, v1
	v_mul_f32_e32 v1, 0x4f7ffffe, v1
	v_cvt_u32_f32_e32 v1, v1
	v_mul_lo_u32 v5, s6, v1
	v_mul_hi_u32 v5, v1, v5
	v_add_u32_e32 v1, v1, v5
	v_mul_hi_u32 v1, v7, v1
	v_mul_lo_u32 v5, v1, s48
	v_add_u32_e32 v6, 1, v1
	v_sub_u32_e32 v5, v7, v5
	v_subrev_u32_e32 v7, s48, v5
	v_cmp_le_u32_e32 vcc, s48, v5
	v_cndmask_b32_e32 v5, v5, v7, vcc
	v_cndmask_b32_e32 v1, v1, v6, vcc
	v_add_u32_e32 v6, 1, v1
	v_cmp_le_u32_e32 vcc, s48, v5
	v_cndmask_b32_e32 v1, v1, v6, vcc
	v_mov_b32_e32 v6, v2
	v_mov_b32_e32 v5, v1
.LBB6_31:                               ;   in Loop: Header=BB6_27 Depth=2
	s_or_b64 exec, exec, s[4:5]
	v_add_u32_e32 v9, 1, v3
	v_mad_u64_u32 v[7:8], s[4:5], v9, s10, -1
	v_mov_b32_e32 v1, v8
	v_mad_u64_u32 v[8:9], s[4:5], v9, s45, v[1:2]
	v_mov_b32_e32 v9, v2
	v_or_b32_e32 v10, s40, v8
	v_cmp_ne_u64_e32 vcc, 0, v[9:10]
	v_mov_b32_e32 v1, v8
                                        ; implicit-def: $vgpr9_vgpr10
	s_and_saveexec_b64 s[4:5], vcc
	s_xor_b64 s[6:7], exec, s[4:5]
	s_cbranch_execnz .LBB6_34
; %bb.32:                               ;   in Loop: Header=BB6_27 Depth=2
	s_andn2_saveexec_b64 s[4:5], s[6:7]
	s_cbranch_execnz .LBB6_35
.LBB6_33:                               ;   in Loop: Header=BB6_27 Depth=2
	s_or_b64 exec, exec, s[4:5]
	s_andn2_b64 vcc, exec, s[14:15]
	s_cbranch_vccz .LBB6_36
	s_branch .LBB6_26
.LBB6_34:                               ;   in Loop: Header=BB6_27 Depth=2
	s_ashr_i32 s8, s40, 31
	s_add_u32 s4, s48, s8
	s_mov_b32 s9, s8
	s_addc_u32 s5, s40, s8
	s_xor_b64 s[26:27], s[4:5], s[8:9]
	v_cvt_f32_u32_e32 v8, s26
	v_cvt_f32_u32_e32 v9, s27
	s_sub_u32 s9, 0, s26
	s_subb_u32 s21, 0, s27
	v_ashrrev_i32_e32 v23, 31, v1
	v_mac_f32_e32 v8, 0x4f800000, v9
	v_rcp_f32_e32 v8, v8
	v_add_co_u32_e32 v7, vcc, v7, v23
	v_xor_b32_e32 v24, v7, v23
	v_mul_f32_e32 v8, 0x5f7ffffc, v8
	v_mul_f32_e32 v9, 0x2f800000, v8
	v_trunc_f32_e32 v9, v9
	v_mac_f32_e32 v8, 0xcf800000, v9
	v_cvt_u32_f32_e32 v9, v9
	v_cvt_u32_f32_e32 v8, v8
	v_addc_co_u32_e32 v1, vcc, v1, v23, vcc
	v_readfirstlane_b32 s28, v9
	v_readfirstlane_b32 s4, v8
	s_mul_i32 s5, s9, s28
	s_mul_hi_u32 s30, s9, s4
	s_mul_i32 s29, s21, s4
	s_add_i32 s5, s30, s5
	s_add_i32 s5, s5, s29
	s_mul_i32 s31, s9, s4
	s_mul_i32 s30, s4, s5
	s_mul_hi_u32 s34, s4, s31
	s_mul_hi_u32 s29, s4, s5
	s_add_u32 s30, s34, s30
	s_addc_u32 s29, 0, s29
	s_mul_hi_u32 s35, s28, s31
	s_mul_i32 s31, s28, s31
	s_add_u32 s30, s30, s31
	s_mul_hi_u32 s34, s28, s5
	s_addc_u32 s29, s29, s35
	s_addc_u32 s30, s34, 0
	s_mul_i32 s5, s28, s5
	s_add_u32 s5, s29, s5
	s_addc_u32 s29, 0, s30
	s_add_u32 s30, s4, s5
	s_cselect_b64 s[4:5], -1, 0
	s_cmp_lg_u64 s[4:5], 0
	s_addc_u32 s28, s28, s29
	s_mul_i32 s4, s9, s28
	s_mul_hi_u32 s5, s9, s30
	s_add_i32 s4, s5, s4
	s_mul_i32 s21, s21, s30
	s_add_i32 s4, s4, s21
	s_mul_i32 s9, s9, s30
	s_mul_hi_u32 s21, s28, s9
	s_mul_i32 s29, s28, s9
	s_mul_i32 s34, s30, s4
	s_mul_hi_u32 s9, s30, s9
	s_mul_hi_u32 s31, s30, s4
	s_add_u32 s9, s9, s34
	s_addc_u32 s31, 0, s31
	s_add_u32 s9, s9, s29
	s_mul_hi_u32 s5, s28, s4
	s_addc_u32 s9, s31, s21
	s_addc_u32 s5, s5, 0
	s_mul_i32 s4, s28, s4
	s_add_u32 s4, s9, s4
	s_addc_u32 s9, 0, s5
	s_add_u32 s21, s30, s4
	s_cselect_b64 s[4:5], -1, 0
	s_cmp_lg_u64 s[4:5], 0
	s_addc_u32 s9, s28, s9
	v_mad_u64_u32 v[7:8], s[4:5], v24, s9, 0
	v_mul_hi_u32 v9, v24, s21
	v_xor_b32_e32 v1, v1, v23
	v_add_co_u32_e32 v25, vcc, v9, v7
	v_addc_co_u32_e32 v26, vcc, 0, v8, vcc
	v_mad_u64_u32 v[7:8], s[4:5], v1, s21, 0
	v_mad_u64_u32 v[9:10], s[4:5], v1, s9, 0
	v_add_co_u32_e32 v7, vcc, v25, v7
	v_addc_co_u32_e32 v7, vcc, v26, v8, vcc
	v_addc_co_u32_e32 v8, vcc, 0, v10, vcc
	v_add_co_u32_e32 v9, vcc, v7, v9
	v_addc_co_u32_e32 v7, vcc, 0, v8, vcc
	v_mul_lo_u32 v10, s27, v9
	v_mul_lo_u32 v25, s26, v7
	v_mad_u64_u32 v[7:8], s[4:5], s26, v9, 0
	v_add3_u32 v8, v8, v25, v10
	v_sub_u32_e32 v10, v1, v8
	v_mov_b32_e32 v25, s27
	v_sub_co_u32_e32 v7, vcc, v24, v7
	v_subb_co_u32_e64 v10, s[4:5], v10, v25, vcc
	v_subrev_co_u32_e64 v24, s[4:5], s26, v7
	v_subbrev_co_u32_e64 v10, s[4:5], 0, v10, s[4:5]
	v_cmp_le_u32_e64 s[4:5], s27, v10
	v_subb_co_u32_e32 v1, vcc, v1, v8, vcc
	v_cndmask_b32_e64 v25, 0, -1, s[4:5]
	v_cmp_le_u32_e64 s[4:5], s26, v24
	v_cmp_le_u32_e32 vcc, s27, v1
	v_cndmask_b32_e64 v24, 0, -1, s[4:5]
	v_cmp_eq_u32_e64 s[4:5], s27, v10
	v_cndmask_b32_e64 v8, 0, -1, vcc
	v_cmp_le_u32_e32 vcc, s26, v7
	v_cndmask_b32_e64 v10, v25, v24, s[4:5]
	v_cndmask_b32_e64 v7, 0, -1, vcc
	v_cmp_eq_u32_e32 vcc, s27, v1
	v_add_co_u32_e64 v24, s[4:5], 2, v9
	v_add_co_u32_e64 v25, s[4:5], 1, v9
	v_cndmask_b32_e32 v1, v8, v7, vcc
	v_cmp_ne_u32_e32 vcc, 0, v10
	v_cndmask_b32_e32 v7, v25, v24, vcc
	v_cmp_ne_u32_e32 vcc, 0, v1
	v_cndmask_b32_e32 v1, v9, v7, vcc
	v_xor_b32_e32 v7, s8, v23
	v_xor_b32_e32 v1, v1, v7
	v_sub_co_u32_e32 v9, vcc, v1, v7
                                        ; implicit-def: $vgpr7_vgpr8
	s_andn2_saveexec_b64 s[4:5], s[6:7]
	s_cbranch_execz .LBB6_33
.LBB6_35:                               ;   in Loop: Header=BB6_27 Depth=2
	v_cvt_f32_u32_e32 v1, s48
	s_sub_i32 s6, 0, s48
	v_rcp_iflag_f32_e32 v1, v1
	v_mul_f32_e32 v1, 0x4f7ffffe, v1
	v_cvt_u32_f32_e32 v1, v1
	v_mul_lo_u32 v8, s6, v1
	v_mul_hi_u32 v8, v1, v8
	v_add_u32_e32 v1, v1, v8
	v_mul_hi_u32 v1, v7, v1
	v_mul_lo_u32 v8, v1, s48
	v_add_u32_e32 v9, 1, v1
	v_sub_u32_e32 v7, v7, v8
	v_subrev_u32_e32 v8, s48, v7
	v_cmp_le_u32_e32 vcc, s48, v7
	v_cndmask_b32_e32 v7, v7, v8, vcc
	v_cndmask_b32_e32 v1, v1, v9, vcc
	v_add_u32_e32 v8, 1, v1
	v_cmp_le_u32_e32 vcc, s48, v7
	v_cndmask_b32_e32 v9, v1, v8, vcc
	s_or_b64 exec, exec, s[4:5]
	s_andn2_b64 vcc, exec, s[14:15]
	s_cbranch_vccnz .LBB6_26
.LBB6_36:                               ;   in Loop: Header=BB6_27 Depth=2
	v_lshlrev_b64 v[7:8], 1, v[3:4]
	v_mad_i64_i32 v[4:5], s[4:5], v22, s10, v[5:6]
	v_add_co_u32_e32 v7, vcc, v19, v7
	v_addc_co_u32_e32 v8, vcc, v20, v8, vcc
	global_load_ushort v1, v[7:8], off
	v_cvt_f32_f16_e32 v7, v12
	v_cvt_f32_f16_e32 v5, v21
	v_sub_u32_e32 v8, v9, v4
	v_add_u32_e32 v8, 1, v8
	v_rcp_f32_e32 v6, v7
	v_cvt_f32_i32_e32 v9, v8
	s_mov_b32 s21, 0
	v_cmp_lt_i32_e64 s[4:5], 0, v8
	s_waitcnt vmcnt(0)
	v_cvt_f32_f16_e32 v10, v1
	v_mul_f32_e32 v22, v10, v6
	v_mad_f32 v23, -v7, v22, v10
	v_mac_f32_e32 v22, v23, v6
	v_mad_f32 v7, -v7, v22, v10
	v_mul_f32_e32 v6, v7, v6
	v_and_b32_e32 v6, 0xff800000, v6
	v_add_f32_e32 v6, v6, v22
	v_cvt_f16_f32_e32 v6, v6
	v_rcp_f32_e32 v7, v5
	v_cvt_f16_f32_e32 v22, v9
	v_div_fixup_f16 v1, v6, v12, v1
	v_cvt_f32_f16_e32 v6, v1
	v_cvt_f32_f16_e32 v9, v22
	v_mul_f32_e32 v10, v6, v7
	v_mad_f32 v23, -v5, v10, v6
	v_mac_f32_e32 v10, v23, v7
	v_mad_f32 v5, -v5, v10, v6
	v_mul_f32_e32 v5, v5, v7
	v_and_b32_e32 v5, 0xff800000, v5
	v_add_f32_e32 v5, v5, v10
	v_cvt_f16_f32_e32 v5, v5
	v_rcp_f32_e32 v7, v9
	v_mov_b32_e32 v6, v4
	v_div_fixup_f16 v1, v5, v21, v1
	v_cvt_f32_f16_e32 v10, v1
	v_mov_b32_e32 v5, v2
	v_ashrrev_i64 v[4:5], 31, v[5:6]
	v_mul_f32_e32 v6, v10, v7
	v_mad_f32 v23, -v9, v6, v10
	v_mac_f32_e32 v6, v23, v7
	v_mad_f32 v9, -v9, v6, v10
	v_mul_f32_e32 v7, v9, v7
	v_and_b32_e32 v7, 0xff800000, v7
	v_add_f32_e32 v6, v7, v6
	v_cvt_f16_f32_e32 v6, v6
	v_add_co_u32_e32 v9, vcc, v17, v4
	v_addc_co_u32_e32 v10, vcc, v18, v5, vcc
	v_div_fixup_f16 v22, v6, v22, v1
	s_branch .LBB6_38
.LBB6_37:                               ;   in Loop: Header=BB6_38 Depth=3
	s_or_b64 exec, exec, s[26:27]
	v_mov_b32_e32 v1, s19
	s_add_i32 s21, s21, 1
	v_add_co_u32_e32 v9, vcc, s18, v9
	s_cmp_lt_i32 s21, s11
	v_addc_co_u32_e32 v10, vcc, v10, v1, vcc
	s_cbranch_scc0 .LBB6_26
.LBB6_38:                               ;   Parent Loop BB6_12 Depth=1
                                        ;     Parent Loop BB6_27 Depth=2
                                        ; =>    This Loop Header: Depth=3
                                        ;         Child Loop BB6_41 Depth 4
                                        ;           Child Loop BB6_44 Depth 5
                                        ;             Child Loop BB6_46 Depth 6
	s_and_saveexec_b64 s[26:27], s[2:3]
	s_cbranch_execz .LBB6_37
; %bb.39:                               ;   in Loop: Header=BB6_38 Depth=3
	s_mov_b32 s54, 0
	s_mov_b64 s[28:29], 0
	s_branch .LBB6_41
.LBB6_40:                               ;   in Loop: Header=BB6_41 Depth=4
	s_or_b64 exec, exec, s[30:31]
	s_add_i32 s54, s54, 1
	v_cmp_ge_i32_e32 vcc, s54, v16
	s_or_b64 s[28:29], vcc, s[28:29]
	s_andn2_b64 exec, exec, s[28:29]
	s_cbranch_execz .LBB6_37
.LBB6_41:                               ;   Parent Loop BB6_12 Depth=1
                                        ;     Parent Loop BB6_27 Depth=2
                                        ;       Parent Loop BB6_38 Depth=3
                                        ; =>      This Loop Header: Depth=4
                                        ;           Child Loop BB6_44 Depth 5
                                        ;             Child Loop BB6_46 Depth 6
	s_and_saveexec_b64 s[30:31], s[4:5]
	s_cbranch_execz .LBB6_40
; %bb.42:                               ;   in Loop: Header=BB6_41 Depth=4
	s_mul_i32 s55, s54, s10
	s_mov_b32 s56, 0
	s_mov_b64 s[34:35], 0
	s_branch .LBB6_44
.LBB6_43:                               ;   in Loop: Header=BB6_44 Depth=5
	s_or_b64 exec, exec, s[36:37]
	s_add_i32 s56, s56, 1
	v_cmp_ge_i32_e32 vcc, s56, v8
	s_or_b64 s[34:35], vcc, s[34:35]
	s_andn2_b64 exec, exec, s[34:35]
	s_cbranch_execz .LBB6_40
.LBB6_44:                               ;   Parent Loop BB6_12 Depth=1
                                        ;     Parent Loop BB6_27 Depth=2
                                        ;       Parent Loop BB6_38 Depth=3
                                        ;         Parent Loop BB6_41 Depth=4
                                        ; =>        This Loop Header: Depth=5
                                        ;             Child Loop BB6_46 Depth 6
	s_add_i32 s6, s56, s55
	s_ashr_i32 s7, s6, 31
	s_lshl_b64 s[6:7], s[6:7], 1
	v_mov_b32_e32 v1, s7
	v_add_co_u32_e32 v4, vcc, s6, v9
	v_addc_co_u32_e32 v5, vcc, v10, v1, vcc
	v_and_b32_e32 v1, 2, v4
	v_sub_co_u32_e32 v6, vcc, 0, v1
	v_subb_co_u32_e64 v7, s[6:7], 0, 0, vcc
	v_add_co_u32_e32 v4, vcc, v4, v6
	v_addc_co_u32_e32 v5, vcc, v5, v7, vcc
	global_load_dword v7, v[4:5], off
	v_cmp_eq_u64_e32 vcc, 0, v[1:2]
	v_cmp_ne_u32_e64 s[6:7], 0, v1
	s_mov_b64 s[36:37], 0
	s_branch .LBB6_46
.LBB6_45:                               ;   in Loop: Header=BB6_46 Depth=6
	s_or_b64 exec, exec, s[8:9]
	global_atomic_cmpswap v1, v[4:5], v[6:7], off glc
	s_waitcnt vmcnt(0)
	v_cmp_eq_u32_e64 s[8:9], v7, v1
	s_or_b64 s[36:37], s[8:9], s[36:37]
	v_mov_b32_e32 v7, v1
	s_andn2_b64 exec, exec, s[36:37]
	s_cbranch_execz .LBB6_43
.LBB6_46:                               ;   Parent Loop BB6_12 Depth=1
                                        ;     Parent Loop BB6_27 Depth=2
                                        ;       Parent Loop BB6_38 Depth=3
                                        ;         Parent Loop BB6_41 Depth=4
                                        ;           Parent Loop BB6_44 Depth=5
                                        ; =>          This Inner Loop Header: Depth=6
	s_waitcnt vmcnt(0)
	v_cndmask_b32_sdwa v1, v7, v7, vcc dst_sel:DWORD dst_unused:UNUSED_PAD src0_sel:WORD_1 src1_sel:DWORD
	v_add_f16_e32 v1, v22, v1
	s_and_saveexec_b64 s[8:9], s[6:7]
	s_xor_b64 s[8:9], exec, s[8:9]
; %bb.47:                               ;   in Loop: Header=BB6_46 Depth=6
	v_and_b32_e32 v6, 0xffff, v7
	v_lshl_or_b32 v6, v1, 16, v6
                                        ; implicit-def: $vgpr1
; %bb.48:                               ;   in Loop: Header=BB6_46 Depth=6
	s_andn2_saveexec_b64 s[8:9], s[8:9]
	s_cbranch_execz .LBB6_45
; %bb.49:                               ;   in Loop: Header=BB6_46 Depth=6
	v_and_or_b32 v6, v7, s53, v1
	s_branch .LBB6_45
.LBB6_50:
	s_endpgm
.LBB6_51:
                                        ; implicit-def: $sgpr14_sgpr15
	s_branch .LBB6_2
.LBB6_52:
                                        ; implicit-def: $sgpr16_sgpr17
	s_branch .LBB6_5
.LBB6_53:
                                        ; implicit-def: $sgpr22_sgpr23
	s_load_dword s3, s[4:5], 0x3c
	s_andn2_b64 vcc, exec, s[20:21]
	s_cbranch_vccz .LBB6_8
	s_branch .LBB6_9
	.section	.rodata,"a",@progbits
	.p2align	6, 0x0
	.amdhsa_kernel _ZN2at6native12_GLOBAL__N_130atomicadaptiveaveragegradinputIN3c104HalfEEEvPT_PKS5_iiiiiil
		.amdhsa_group_segment_fixed_size 0
		.amdhsa_private_segment_fixed_size 0
		.amdhsa_kernarg_size 304
		.amdhsa_user_sgpr_count 6
		.amdhsa_user_sgpr_private_segment_buffer 1
		.amdhsa_user_sgpr_dispatch_ptr 0
		.amdhsa_user_sgpr_queue_ptr 0
		.amdhsa_user_sgpr_kernarg_segment_ptr 1
		.amdhsa_user_sgpr_dispatch_id 0
		.amdhsa_user_sgpr_flat_scratch_init 0
		.amdhsa_user_sgpr_private_segment_size 0
		.amdhsa_uses_dynamic_stack 0
		.amdhsa_system_sgpr_private_segment_wavefront_offset 0
		.amdhsa_system_sgpr_workgroup_id_x 1
		.amdhsa_system_sgpr_workgroup_id_y 1
		.amdhsa_system_sgpr_workgroup_id_z 0
		.amdhsa_system_sgpr_workgroup_info 0
		.amdhsa_system_vgpr_workitem_id 1
		.amdhsa_next_free_vgpr 27
		.amdhsa_next_free_sgpr 57
		.amdhsa_reserve_vcc 1
		.amdhsa_reserve_flat_scratch 0
		.amdhsa_float_round_mode_32 0
		.amdhsa_float_round_mode_16_64 0
		.amdhsa_float_denorm_mode_32 3
		.amdhsa_float_denorm_mode_16_64 3
		.amdhsa_dx10_clamp 1
		.amdhsa_ieee_mode 1
		.amdhsa_fp16_overflow 0
		.amdhsa_exception_fp_ieee_invalid_op 0
		.amdhsa_exception_fp_denorm_src 0
		.amdhsa_exception_fp_ieee_div_zero 0
		.amdhsa_exception_fp_ieee_overflow 0
		.amdhsa_exception_fp_ieee_underflow 0
		.amdhsa_exception_fp_ieee_inexact 0
		.amdhsa_exception_int_div_zero 0
	.end_amdhsa_kernel
	.section	.text._ZN2at6native12_GLOBAL__N_130atomicadaptiveaveragegradinputIN3c104HalfEEEvPT_PKS5_iiiiiil,"axG",@progbits,_ZN2at6native12_GLOBAL__N_130atomicadaptiveaveragegradinputIN3c104HalfEEEvPT_PKS5_iiiiiil,comdat
.Lfunc_end6:
	.size	_ZN2at6native12_GLOBAL__N_130atomicadaptiveaveragegradinputIN3c104HalfEEEvPT_PKS5_iiiiiil, .Lfunc_end6-_ZN2at6native12_GLOBAL__N_130atomicadaptiveaveragegradinputIN3c104HalfEEEvPT_PKS5_iiiiiil
                                        ; -- End function
	.set _ZN2at6native12_GLOBAL__N_130atomicadaptiveaveragegradinputIN3c104HalfEEEvPT_PKS5_iiiiiil.num_vgpr, 27
	.set _ZN2at6native12_GLOBAL__N_130atomicadaptiveaveragegradinputIN3c104HalfEEEvPT_PKS5_iiiiiil.num_agpr, 0
	.set _ZN2at6native12_GLOBAL__N_130atomicadaptiveaveragegradinputIN3c104HalfEEEvPT_PKS5_iiiiiil.numbered_sgpr, 57
	.set _ZN2at6native12_GLOBAL__N_130atomicadaptiveaveragegradinputIN3c104HalfEEEvPT_PKS5_iiiiiil.num_named_barrier, 0
	.set _ZN2at6native12_GLOBAL__N_130atomicadaptiveaveragegradinputIN3c104HalfEEEvPT_PKS5_iiiiiil.private_seg_size, 0
	.set _ZN2at6native12_GLOBAL__N_130atomicadaptiveaveragegradinputIN3c104HalfEEEvPT_PKS5_iiiiiil.uses_vcc, 1
	.set _ZN2at6native12_GLOBAL__N_130atomicadaptiveaveragegradinputIN3c104HalfEEEvPT_PKS5_iiiiiil.uses_flat_scratch, 0
	.set _ZN2at6native12_GLOBAL__N_130atomicadaptiveaveragegradinputIN3c104HalfEEEvPT_PKS5_iiiiiil.has_dyn_sized_stack, 0
	.set _ZN2at6native12_GLOBAL__N_130atomicadaptiveaveragegradinputIN3c104HalfEEEvPT_PKS5_iiiiiil.has_recursion, 0
	.set _ZN2at6native12_GLOBAL__N_130atomicadaptiveaveragegradinputIN3c104HalfEEEvPT_PKS5_iiiiiil.has_indirect_call, 0
	.section	.AMDGPU.csdata,"",@progbits
; Kernel info:
; codeLenInByte = 6540
; TotalNumSgprs: 61
; NumVgprs: 27
; ScratchSize: 0
; MemoryBound: 0
; FloatMode: 240
; IeeeMode: 1
; LDSByteSize: 0 bytes/workgroup (compile time only)
; SGPRBlocks: 7
; VGPRBlocks: 6
; NumSGPRsForWavesPerEU: 61
; NumVGPRsForWavesPerEU: 27
; Occupancy: 9
; WaveLimiterHint : 0
; COMPUTE_PGM_RSRC2:SCRATCH_EN: 0
; COMPUTE_PGM_RSRC2:USER_SGPR: 6
; COMPUTE_PGM_RSRC2:TRAP_HANDLER: 0
; COMPUTE_PGM_RSRC2:TGID_X_EN: 1
; COMPUTE_PGM_RSRC2:TGID_Y_EN: 1
; COMPUTE_PGM_RSRC2:TGID_Z_EN: 0
; COMPUTE_PGM_RSRC2:TIDIG_COMP_CNT: 1
	.section	.text._ZN2at6native12_GLOBAL__N_130atomicadaptiveaveragegradinputIN3c108BFloat16EEEvPT_PKS5_iiiiiil,"axG",@progbits,_ZN2at6native12_GLOBAL__N_130atomicadaptiveaveragegradinputIN3c108BFloat16EEEvPT_PKS5_iiiiiil,comdat
	.globl	_ZN2at6native12_GLOBAL__N_130atomicadaptiveaveragegradinputIN3c108BFloat16EEEvPT_PKS5_iiiiiil ; -- Begin function _ZN2at6native12_GLOBAL__N_130atomicadaptiveaveragegradinputIN3c108BFloat16EEEvPT_PKS5_iiiiiil
	.p2align	8
	.type	_ZN2at6native12_GLOBAL__N_130atomicadaptiveaveragegradinputIN3c108BFloat16EEEvPT_PKS5_iiiiiil,@function
_ZN2at6native12_GLOBAL__N_130atomicadaptiveaveragegradinputIN3c108BFloat16EEEvPT_PKS5_iiiiiil: ; @_ZN2at6native12_GLOBAL__N_130atomicadaptiveaveragegradinputIN3c108BFloat16EEEvPT_PKS5_iiiiiil
; %bb.0:
	s_load_dwordx8 s[8:15], s[4:5], 0x10
	s_mov_b32 s16, 0
	s_waitcnt lgkmcnt(0)
	s_add_u32 s0, s14, s6
	s_addc_u32 s1, s15, 0
	s_ashr_i32 s3, s11, 31
	s_mov_b32 s2, s11
	s_or_b64 s[14:15], s[0:1], s[2:3]
	s_mov_b32 s17, s15
	s_cmp_lg_u64 s[16:17], 0
	s_cbranch_scc0 .LBB7_51
; %bb.1:
	s_ashr_i32 s14, s3, 31
	s_add_u32 s16, s2, s14
	s_mov_b32 s15, s14
	s_addc_u32 s17, s3, s14
	s_xor_b64 s[18:19], s[16:17], s[14:15]
	v_cvt_f32_u32_e32 v2, s18
	v_cvt_f32_u32_e32 v3, s19
	s_sub_u32 s6, 0, s18
	s_subb_u32 s11, 0, s19
	v_madmk_f32 v2, v3, 0x4f800000, v2
	v_rcp_f32_e32 v2, v2
	v_mul_f32_e32 v2, 0x5f7ffffc, v2
	v_mul_f32_e32 v3, 0x2f800000, v2
	v_trunc_f32_e32 v3, v3
	v_madmk_f32 v2, v3, 0xcf800000, v2
	v_cvt_u32_f32_e32 v3, v3
	v_cvt_u32_f32_e32 v2, v2
	v_readfirstlane_b32 s22, v3
	v_readfirstlane_b32 s20, v2
	s_mul_i32 s21, s6, s22
	s_mul_hi_u32 s24, s6, s20
	s_mul_i32 s23, s11, s20
	s_add_i32 s21, s24, s21
	s_add_i32 s21, s21, s23
	s_mul_i32 s25, s6, s20
	s_mul_i32 s24, s20, s21
	s_mul_hi_u32 s26, s20, s25
	s_mul_hi_u32 s23, s20, s21
	s_add_u32 s24, s26, s24
	s_addc_u32 s23, 0, s23
	s_mul_hi_u32 s27, s22, s25
	s_mul_i32 s25, s22, s25
	s_add_u32 s24, s24, s25
	s_mul_hi_u32 s26, s22, s21
	s_addc_u32 s23, s23, s27
	s_addc_u32 s24, s26, 0
	s_mul_i32 s21, s22, s21
	s_add_u32 s21, s23, s21
	s_addc_u32 s23, 0, s24
	s_add_u32 s24, s20, s21
	s_cselect_b64 s[20:21], -1, 0
	s_cmp_lg_u64 s[20:21], 0
	s_addc_u32 s22, s22, s23
	s_mul_i32 s20, s6, s22
	s_mul_hi_u32 s21, s6, s24
	s_add_i32 s20, s21, s20
	s_mul_i32 s11, s11, s24
	s_add_i32 s20, s20, s11
	s_mul_i32 s6, s6, s24
	s_mul_hi_u32 s21, s22, s6
	s_mul_i32 s23, s22, s6
	s_mul_i32 s26, s24, s20
	s_mul_hi_u32 s6, s24, s6
	s_mul_hi_u32 s25, s24, s20
	s_add_u32 s6, s6, s26
	s_addc_u32 s25, 0, s25
	s_add_u32 s6, s6, s23
	s_mul_hi_u32 s11, s22, s20
	s_addc_u32 s6, s25, s21
	s_addc_u32 s11, s11, 0
	s_mul_i32 s20, s22, s20
	s_add_u32 s6, s6, s20
	s_addc_u32 s11, 0, s11
	s_add_u32 s6, s24, s6
	s_cselect_b64 s[20:21], -1, 0
	s_cmp_lg_u64 s[20:21], 0
	s_addc_u32 s11, s22, s11
	s_ashr_i32 s20, s1, 31
	s_add_u32 s22, s0, s20
	s_mov_b32 s21, s20
	s_addc_u32 s23, s1, s20
	s_xor_b64 s[22:23], s[22:23], s[20:21]
	s_mul_i32 s25, s22, s11
	s_mul_hi_u32 s26, s22, s6
	s_mul_hi_u32 s24, s22, s11
	s_add_u32 s25, s26, s25
	s_addc_u32 s24, 0, s24
	s_mul_hi_u32 s27, s23, s6
	s_mul_i32 s6, s23, s6
	s_add_u32 s6, s25, s6
	s_mul_hi_u32 s26, s23, s11
	s_addc_u32 s6, s24, s27
	s_addc_u32 s24, s26, 0
	s_mul_i32 s11, s23, s11
	s_add_u32 s6, s6, s11
	s_addc_u32 s11, 0, s24
	s_mul_i32 s24, s18, s11
	s_mul_hi_u32 s25, s18, s6
	s_add_i32 s24, s25, s24
	s_mul_i32 s25, s19, s6
	s_add_i32 s28, s24, s25
	s_sub_i32 s26, s23, s28
	s_mul_i32 s24, s18, s6
	s_sub_u32 s22, s22, s24
	s_cselect_b64 s[24:25], -1, 0
	s_cmp_lg_u64 s[24:25], 0
	s_subb_u32 s29, s26, s19
	s_sub_u32 s30, s22, s18
	s_cselect_b64 s[26:27], -1, 0
	s_cmp_lg_u64 s[26:27], 0
	s_subb_u32 s26, s29, 0
	s_cmp_ge_u32 s26, s19
	s_cselect_b32 s27, -1, 0
	s_cmp_ge_u32 s30, s18
	s_cselect_b32 s29, -1, 0
	s_cmp_eq_u32 s26, s19
	s_cselect_b32 s26, s29, s27
	s_add_u32 s27, s6, 1
	s_addc_u32 s29, s11, 0
	s_add_u32 s30, s6, 2
	s_addc_u32 s31, s11, 0
	s_cmp_lg_u32 s26, 0
	s_cselect_b32 s26, s30, s27
	s_cselect_b32 s27, s31, s29
	s_cmp_lg_u64 s[24:25], 0
	s_subb_u32 s23, s23, s28
	s_cmp_ge_u32 s23, s19
	s_cselect_b32 s24, -1, 0
	s_cmp_ge_u32 s22, s18
	s_cselect_b32 s18, -1, 0
	s_cmp_eq_u32 s23, s19
	s_cselect_b32 s18, s18, s24
	s_cmp_lg_u32 s18, 0
	s_cselect_b32 s19, s27, s11
	s_cselect_b32 s18, s26, s6
	s_xor_b64 s[14:15], s[20:21], s[14:15]
	s_xor_b64 s[18:19], s[18:19], s[14:15]
	s_sub_u32 s14, s18, s14
	s_subb_u32 s15, s19, s15
	s_cbranch_execnz .LBB7_3
.LBB7_2:
	v_cvt_f32_u32_e32 v2, s2
	s_sub_i32 s6, 0, s2
	s_mov_b32 s15, 0
	v_rcp_iflag_f32_e32 v2, v2
	v_mul_f32_e32 v2, 0x4f7ffffe, v2
	v_cvt_u32_f32_e32 v2, v2
	v_readfirstlane_b32 s11, v2
	s_mul_i32 s6, s6, s11
	s_mul_hi_u32 s6, s11, s6
	s_add_i32 s11, s11, s6
	s_mul_hi_u32 s6, s0, s11
	s_mul_i32 s14, s6, s2
	s_sub_i32 s14, s0, s14
	s_add_i32 s11, s6, 1
	s_sub_i32 s16, s14, s2
	s_cmp_ge_u32 s14, s2
	s_cselect_b32 s6, s11, s6
	s_cselect_b32 s14, s16, s14
	s_add_i32 s11, s6, 1
	s_cmp_ge_u32 s14, s2
	s_cselect_b32 s14, s11, s6
.LBB7_3:
	s_mul_i32 s6, s14, s3
	s_mul_hi_u32 s11, s14, s2
	s_add_i32 s6, s11, s6
	s_mul_i32 s11, s15, s2
	s_add_i32 s6, s6, s11
	s_mul_i32 s11, s14, s2
	s_sub_u32 s11, s0, s11
	s_subb_u32 s15, s1, s6
	s_abs_i32 s6, s2
	v_cvt_f32_u32_e32 v2, s6
	s_sub_i32 s19, 0, s6
	s_abs_i32 s18, s11
	s_xor_b32 s16, s11, s2
	v_rcp_iflag_f32_e32 v2, v2
	s_ashr_i32 s24, s8, 31
	s_ashr_i32 s17, s16, 31
	s_mov_b32 s16, 0
	v_mul_f32_e32 v2, 0x4f7ffffe, v2
	v_cvt_u32_f32_e32 v2, v2
	v_readfirstlane_b32 s20, v2
	s_mul_i32 s19, s19, s20
	s_mul_hi_u32 s19, s20, s19
	s_add_i32 s20, s20, s19
	s_mul_hi_u32 s19, s18, s20
	s_mul_i32 s20, s19, s6
	s_sub_i32 s18, s18, s20
	s_add_i32 s20, s19, 1
	s_sub_i32 s21, s18, s6
	s_cmp_ge_u32 s18, s6
	s_cselect_b32 s19, s20, s19
	s_cselect_b32 s18, s21, s18
	s_add_i32 s20, s19, 1
	s_cmp_ge_u32 s18, s6
	s_cselect_b32 s6, s20, s19
	s_xor_b32 s6, s6, s17
	s_sub_i32 s6, s6, s17
	s_mul_i32 s17, s6, s2
	s_sub_i32 s17, s11, s17
	s_mul_hi_i32 s19, s17, s8
	s_mul_i32 s18, s17, s8
	s_or_b64 s[20:21], s[18:19], s[2:3]
	s_mov_b32 s17, s21
	s_cmp_lg_u64 s[16:17], 0
	s_cbranch_scc0 .LBB7_52
; %bb.4:
	s_ashr_i32 s16, s3, 31
	s_add_u32 s20, s2, s16
	s_mov_b32 s17, s16
	s_addc_u32 s21, s3, s16
	s_xor_b64 s[22:23], s[20:21], s[16:17]
	v_cvt_f32_u32_e32 v2, s22
	v_cvt_f32_u32_e32 v3, s23
	s_sub_u32 s25, 0, s22
	s_subb_u32 s28, 0, s23
	v_madmk_f32 v2, v3, 0x4f800000, v2
	v_rcp_f32_e32 v2, v2
	v_mul_f32_e32 v2, 0x5f7ffffc, v2
	v_mul_f32_e32 v3, 0x2f800000, v2
	v_trunc_f32_e32 v3, v3
	v_madmk_f32 v2, v3, 0xcf800000, v2
	v_cvt_u32_f32_e32 v3, v3
	v_cvt_u32_f32_e32 v2, v2
	v_readfirstlane_b32 s29, v3
	v_readfirstlane_b32 s26, v2
	s_mul_i32 s27, s25, s29
	s_mul_hi_u32 s31, s25, s26
	s_mul_i32 s30, s28, s26
	s_add_i32 s27, s31, s27
	s_add_i32 s27, s27, s30
	s_mul_i32 s33, s25, s26
	s_mul_i32 s31, s26, s27
	s_mul_hi_u32 s34, s26, s33
	s_mul_hi_u32 s30, s26, s27
	s_add_u32 s31, s34, s31
	s_addc_u32 s30, 0, s30
	s_mul_hi_u32 s35, s29, s33
	s_mul_i32 s33, s29, s33
	s_add_u32 s31, s31, s33
	s_mul_hi_u32 s34, s29, s27
	s_addc_u32 s30, s30, s35
	s_addc_u32 s31, s34, 0
	s_mul_i32 s27, s29, s27
	s_add_u32 s27, s30, s27
	s_addc_u32 s30, 0, s31
	s_add_u32 s31, s26, s27
	s_cselect_b64 s[26:27], -1, 0
	s_cmp_lg_u64 s[26:27], 0
	s_addc_u32 s29, s29, s30
	s_mul_i32 s26, s25, s29
	s_mul_hi_u32 s27, s25, s31
	s_add_i32 s26, s27, s26
	s_mul_i32 s28, s28, s31
	s_add_i32 s26, s26, s28
	s_mul_i32 s25, s25, s31
	s_mul_hi_u32 s28, s29, s25
	s_mul_i32 s30, s29, s25
	s_mul_i32 s34, s31, s26
	s_mul_hi_u32 s25, s31, s25
	s_mul_hi_u32 s33, s31, s26
	s_add_u32 s25, s25, s34
	s_addc_u32 s33, 0, s33
	s_add_u32 s25, s25, s30
	s_mul_hi_u32 s27, s29, s26
	s_addc_u32 s25, s33, s28
	s_addc_u32 s27, s27, 0
	s_mul_i32 s26, s29, s26
	s_add_u32 s25, s25, s26
	s_addc_u32 s28, 0, s27
	s_add_u32 s25, s31, s25
	s_cselect_b64 s[26:27], -1, 0
	s_cmp_lg_u64 s[26:27], 0
	s_addc_u32 s30, s29, s28
	s_ashr_i32 s26, s19, 31
	s_add_u32 s28, s18, s26
	s_mov_b32 s27, s26
	s_addc_u32 s29, s19, s26
	s_xor_b64 s[28:29], s[28:29], s[26:27]
	s_mul_i32 s31, s28, s30
	s_mul_hi_u32 s33, s28, s25
	s_mul_hi_u32 s19, s28, s30
	s_add_u32 s31, s33, s31
	s_addc_u32 s19, 0, s19
	s_mul_hi_u32 s34, s29, s25
	s_mul_i32 s25, s29, s25
	s_add_u32 s25, s31, s25
	s_mul_hi_u32 s33, s29, s30
	s_addc_u32 s19, s19, s34
	s_addc_u32 s25, s33, 0
	s_mul_i32 s30, s29, s30
	s_add_u32 s19, s19, s30
	s_addc_u32 s25, 0, s25
	s_mul_i32 s30, s22, s25
	s_mul_hi_u32 s31, s22, s19
	s_add_i32 s30, s31, s30
	s_mul_i32 s31, s23, s19
	s_add_i32 s33, s30, s31
	s_sub_i32 s34, s29, s33
	s_mul_i32 s30, s22, s19
	s_sub_u32 s28, s28, s30
	s_cselect_b64 s[30:31], -1, 0
	s_cmp_lg_u64 s[30:31], 0
	s_subb_u32 s36, s34, s23
	s_sub_u32 s37, s28, s22
	s_cselect_b64 s[34:35], -1, 0
	s_cmp_lg_u64 s[34:35], 0
	s_subb_u32 s34, s36, 0
	s_cmp_ge_u32 s34, s23
	s_cselect_b32 s35, -1, 0
	s_cmp_ge_u32 s37, s22
	s_cselect_b32 s36, -1, 0
	s_cmp_eq_u32 s34, s23
	s_cselect_b32 s34, s36, s35
	s_add_u32 s35, s19, 1
	s_addc_u32 s36, s25, 0
	s_add_u32 s37, s19, 2
	s_addc_u32 s38, s25, 0
	s_cmp_lg_u32 s34, 0
	s_cselect_b32 s34, s37, s35
	s_cselect_b32 s35, s38, s36
	s_cmp_lg_u64 s[30:31], 0
	s_subb_u32 s29, s29, s33
	s_cmp_ge_u32 s29, s23
	s_cselect_b32 s30, -1, 0
	s_cmp_ge_u32 s28, s22
	s_cselect_b32 s22, -1, 0
	s_cmp_eq_u32 s29, s23
	s_cselect_b32 s22, s22, s30
	s_cmp_lg_u32 s22, 0
	s_cselect_b32 s23, s35, s25
	s_cselect_b32 s22, s34, s19
	s_xor_b64 s[16:17], s[26:27], s[16:17]
	s_xor_b64 s[22:23], s[22:23], s[16:17]
	s_sub_u32 s16, s22, s16
	s_cbranch_execnz .LBB7_6
.LBB7_5:
	v_cvt_f32_u32_e32 v2, s2
	s_sub_i32 s16, 0, s2
	v_rcp_iflag_f32_e32 v2, v2
	v_mul_f32_e32 v2, 0x4f7ffffe, v2
	v_cvt_u32_f32_e32 v2, v2
	v_readfirstlane_b32 s17, v2
	s_mul_i32 s16, s16, s17
	s_mul_hi_u32 s16, s17, s16
	s_add_i32 s17, s17, s16
	s_mul_hi_u32 s16, s18, s17
	s_mul_i32 s19, s16, s2
	s_sub_i32 s18, s18, s19
	s_add_i32 s17, s16, 1
	s_sub_i32 s19, s18, s2
	s_cmp_ge_u32 s18, s2
	s_cselect_b32 s16, s17, s16
	s_cselect_b32 s18, s19, s18
	s_add_i32 s17, s16, 1
	s_cmp_ge_u32 s18, s2
	s_cselect_b32 s16, s17, s16
.LBB7_6:
	s_add_u32 s11, s11, 1
	s_addc_u32 s15, s15, 0
	s_mul_i32 s17, s11, s24
	s_mul_hi_u32 s18, s11, s8
	s_add_i32 s17, s18, s17
	s_mul_i32 s15, s15, s8
	s_add_i32 s17, s17, s15
	s_mul_i32 s11, s11, s8
	s_add_u32 s18, s11, -1
	s_addc_u32 s19, s17, -1
	s_or_b64 s[20:21], s[18:19], s[2:3]
	s_mov_b32 s20, 0
	s_cmp_lg_u64 s[20:21], 0
	s_mov_b64 s[20:21], -1
	s_cbranch_scc0 .LBB7_53
; %bb.7:
	s_ashr_i32 s22, s3, 31
	s_add_u32 s20, s2, s22
	s_mov_b32 s23, s22
	s_addc_u32 s21, s3, s22
	s_xor_b64 s[24:25], s[20:21], s[22:23]
	v_cvt_f32_u32_e32 v2, s24
	v_cvt_f32_u32_e32 v3, s25
	s_sub_u32 s3, 0, s24
	s_subb_u32 s11, 0, s25
	v_madmk_f32 v2, v3, 0x4f800000, v2
	v_rcp_f32_e32 v2, v2
	v_mul_f32_e32 v2, 0x5f7ffffc, v2
	v_mul_f32_e32 v3, 0x2f800000, v2
	v_trunc_f32_e32 v3, v3
	v_madmk_f32 v2, v3, 0xcf800000, v2
	v_cvt_u32_f32_e32 v3, v3
	v_cvt_u32_f32_e32 v2, v2
	v_readfirstlane_b32 s15, v3
	v_readfirstlane_b32 s17, v2
	s_mul_i32 s26, s3, s15
	s_mul_hi_u32 s28, s3, s17
	s_mul_i32 s27, s11, s17
	s_add_i32 s26, s28, s26
	s_add_i32 s26, s26, s27
	s_mul_i32 s29, s3, s17
	s_mul_i32 s28, s17, s26
	s_mul_hi_u32 s30, s17, s29
	s_mul_hi_u32 s27, s17, s26
	s_add_u32 s28, s30, s28
	s_addc_u32 s27, 0, s27
	s_mul_hi_u32 s31, s15, s29
	s_mul_i32 s29, s15, s29
	s_add_u32 s28, s28, s29
	s_mul_hi_u32 s30, s15, s26
	s_addc_u32 s27, s27, s31
	s_addc_u32 s28, s30, 0
	s_mul_i32 s26, s15, s26
	s_add_u32 s26, s27, s26
	s_addc_u32 s28, 0, s28
	s_add_u32 s17, s17, s26
	s_cselect_b64 s[26:27], -1, 0
	s_cmp_lg_u64 s[26:27], 0
	s_addc_u32 s15, s15, s28
	s_mul_i32 s26, s3, s15
	s_mul_hi_u32 s27, s3, s17
	s_add_i32 s26, s27, s26
	s_mul_i32 s11, s11, s17
	s_add_i32 s26, s26, s11
	s_mul_i32 s3, s3, s17
	s_mul_hi_u32 s27, s15, s3
	s_mul_i32 s28, s15, s3
	s_mul_i32 s30, s17, s26
	s_mul_hi_u32 s3, s17, s3
	s_mul_hi_u32 s29, s17, s26
	s_add_u32 s3, s3, s30
	s_addc_u32 s29, 0, s29
	s_add_u32 s3, s3, s28
	s_mul_hi_u32 s11, s15, s26
	s_addc_u32 s3, s29, s27
	s_addc_u32 s11, s11, 0
	s_mul_i32 s26, s15, s26
	s_add_u32 s3, s3, s26
	s_addc_u32 s11, 0, s11
	s_add_u32 s3, s17, s3
	s_cselect_b64 s[26:27], -1, 0
	s_cmp_lg_u64 s[26:27], 0
	s_addc_u32 s11, s15, s11
	s_ashr_i32 s26, s19, 31
	s_add_u32 s28, s18, s26
	s_mov_b32 s27, s26
	s_addc_u32 s29, s19, s26
	s_xor_b64 s[28:29], s[28:29], s[26:27]
	s_mul_i32 s17, s28, s11
	s_mul_hi_u32 s19, s28, s3
	s_mul_hi_u32 s15, s28, s11
	s_add_u32 s17, s19, s17
	s_addc_u32 s15, 0, s15
	s_mul_hi_u32 s30, s29, s3
	s_mul_i32 s3, s29, s3
	s_add_u32 s3, s17, s3
	s_mul_hi_u32 s19, s29, s11
	s_addc_u32 s3, s15, s30
	s_addc_u32 s15, s19, 0
	s_mul_i32 s11, s29, s11
	s_add_u32 s3, s3, s11
	s_addc_u32 s11, 0, s15
	s_mul_i32 s15, s24, s11
	s_mul_hi_u32 s17, s24, s3
	s_add_i32 s15, s17, s15
	s_mul_i32 s17, s25, s3
	s_add_i32 s15, s15, s17
	s_sub_i32 s17, s29, s15
	s_mul_i32 s19, s24, s3
	s_sub_u32 s19, s28, s19
	s_cselect_b64 s[30:31], -1, 0
	s_cmp_lg_u64 s[30:31], 0
	s_subb_u32 s17, s17, s25
	s_sub_u32 s28, s19, s24
	s_cselect_b64 s[34:35], -1, 0
	s_cmp_lg_u64 s[34:35], 0
	s_subb_u32 s17, s17, 0
	s_cmp_ge_u32 s17, s25
	s_cselect_b32 s33, -1, 0
	s_cmp_ge_u32 s28, s24
	s_cselect_b32 s28, -1, 0
	s_cmp_eq_u32 s17, s25
	s_cselect_b32 s17, s28, s33
	s_add_u32 s28, s3, 1
	s_addc_u32 s33, s11, 0
	s_add_u32 s34, s3, 2
	s_addc_u32 s35, s11, 0
	s_cmp_lg_u32 s17, 0
	s_cselect_b32 s17, s34, s28
	s_cselect_b32 s28, s35, s33
	s_cmp_lg_u64 s[30:31], 0
	s_subb_u32 s15, s29, s15
	s_cmp_ge_u32 s15, s25
	s_cselect_b32 s29, -1, 0
	s_cmp_ge_u32 s19, s24
	s_cselect_b32 s19, -1, 0
	s_cmp_eq_u32 s15, s25
	s_cselect_b32 s15, s19, s29
	s_cmp_lg_u32 s15, 0
	s_cselect_b32 s25, s28, s11
	s_cselect_b32 s24, s17, s3
	s_xor_b64 s[22:23], s[26:27], s[22:23]
	s_xor_b64 s[24:25], s[24:25], s[22:23]
	s_sub_u32 s22, s24, s22
	s_load_dword s3, s[4:5], 0x3c
	s_cbranch_execnz .LBB7_9
.LBB7_8:
	v_cvt_f32_u32_e32 v2, s2
	s_sub_i32 s11, 0, s2
	v_rcp_iflag_f32_e32 v2, v2
	v_mul_f32_e32 v2, 0x4f7ffffe, v2
	v_cvt_u32_f32_e32 v2, v2
	v_readfirstlane_b32 s15, v2
	s_mul_i32 s11, s11, s15
	s_mul_hi_u32 s11, s15, s11
	s_add_i32 s15, s15, s11
	s_mul_hi_u32 s11, s18, s15
	s_mul_i32 s17, s11, s2
	s_sub_i32 s17, s18, s17
	s_add_i32 s15, s11, 1
	s_sub_i32 s18, s17, s2
	s_cmp_ge_u32 s17, s2
	s_cselect_b32 s11, s15, s11
	s_cselect_b32 s17, s18, s17
	s_add_i32 s15, s11, 1
	s_cmp_ge_u32 s17, s2
	s_cselect_b32 s22, s15, s11
.LBB7_9:
	s_waitcnt lgkmcnt(0)
	s_lshr_b32 s2, s3, 16
	s_mul_i32 s7, s7, s2
	v_add_u32_e32 v12, s7, v1
	v_cmp_gt_i32_e32 vcc, s12, v12
	s_and_saveexec_b64 s[18:19], vcc
	s_cbranch_execz .LBB7_50
; %bb.10:
	s_mul_i32 s6, s6, s8
	s_add_i32 s6, s16, s6
	s_load_dword s45, s[4:5], 0x34
	s_load_dwordx4 s[16:19], s[4:5], 0x0
	s_mul_i32 s4, s8, s14
	s_add_i32 s5, s4, s6
	s_mul_i32 s4, s10, s9
	s_sub_i32 s11, s22, s6
	s_mul_i32 s6, s4, s5
	s_ashr_i32 s7, s6, 31
	s_add_i32 s11, s11, 1
	s_lshl_b64 s[6:7], s[6:7], 1
	s_waitcnt lgkmcnt(0)
	s_add_u32 s33, s16, s6
	s_mul_i32 s6, s13, s12
	s_addc_u32 s38, s17, s7
	s_mul_hi_i32 s5, s13, s12
	s_mul_i32 s1, s6, s1
	s_mul_hi_u32 s7, s6, s0
	s_add_i32 s1, s7, s1
	s_mul_i32 s5, s5, s0
	s_add_i32 s1, s1, s5
	s_mul_i32 s0, s6, s0
	s_ashr_i32 s39, s12, 31
	s_ashr_i32 s41, s13, 31
	s_lshl_b64 s[0:1], s[0:1], 1
	s_add_u32 s43, s18, s0
	s_addc_u32 s44, s19, s1
	s_and_b32 s46, s3, 0xffff
	s_ashr_i32 s47, s9, 31
	v_cvt_f32_i32_e32 v1, s11
	s_ashr_i32 s49, s10, 31
	s_cmp_gt_i32 s11, 0
	s_mov_b32 s48, s9
	s_cselect_b64 s[8:9], -1, 0
	s_ashr_i32 s50, s12, 31
	s_mul_i32 s45, s45, s2
	s_add_i32 s2, s12, s50
	v_bfe_u32 v2, v1, 16, 1
	s_xor_b32 s51, s2, s50
	s_mov_b32 s40, s12
	v_add_u32_e32 v1, v1, v2
	v_cvt_f32_u32_e32 v2, s51
	v_cvt_f32_u32_e32 v3, s40
	v_add_u32_e32 v1, 0x7fff, v1
	v_and_b32_e32 v13, 0xffff0000, v1
	v_rcp_iflag_f32_e32 v2, v2
	v_rcp_iflag_f32_e32 v3, v3
	s_sub_i32 s2, 0, s51
	s_ashr_i32 s5, s4, 31
	v_mul_f32_e32 v1, 0x4f7ffffe, v2
	v_cvt_u32_f32_e32 v1, v1
	v_mul_f32_e32 v2, 0x4f7ffffe, v3
	v_cvt_u32_f32_e32 v3, v2
	s_mov_b32 s42, s13
	v_mul_lo_u32 v2, s2, v1
	s_sub_i32 s2, 0, s12
	v_mul_lo_u32 v4, s2, v3
	v_cmp_gt_i32_e64 s[0:1], s13, v0
	v_mul_hi_u32 v5, v1, v2
	s_movk_i32 s52, 0x7fff
	v_mul_hi_u32 v4, v3, v4
	s_mov_b32 s53, 0xffff0000
	s_mov_b32 s14, 0
	s_mov_b64 s[16:17], 0
	v_mov_b32_e32 v2, 0
	v_add_u32_e32 v14, v1, v5
	v_add_u32_e32 v15, v3, v4
	s_lshl_b64 s[18:19], s[4:5], 1
	s_ashr_i32 s20, s39, 31
	v_mov_b32_e32 v16, 0x7fc00000
	s_branch .LBB7_12
.LBB7_11:                               ;   in Loop: Header=BB7_12 Depth=1
	s_or_b64 exec, exec, s[22:23]
	v_add_u32_e32 v12, s45, v12
	v_cmp_le_i32_e32 vcc, s12, v12
	s_or_b64 s[16:17], vcc, s[16:17]
	s_andn2_b64 exec, exec, s[16:17]
	s_cbranch_execz .LBB7_50
.LBB7_12:                               ; =>This Loop Header: Depth=1
                                        ;     Child Loop BB7_27 Depth 2
                                        ;       Child Loop BB7_42 Depth 3
                                        ;         Child Loop BB7_45 Depth 4
                                        ;           Child Loop BB7_47 Depth 5
                                        ;             Child Loop BB7_48 Depth 6
	v_ashrrev_i32_e32 v8, 31, v12
	v_or_b32_e32 v4, s39, v8
	v_mov_b32_e32 v3, v2
	v_cmp_ne_u64_e32 vcc, 0, v[3:4]
                                        ; implicit-def: $vgpr3_vgpr4
	s_and_saveexec_b64 s[2:3], vcc
	s_xor_b64 s[2:3], exec, s[2:3]
	s_cbranch_execz .LBB7_14
; %bb.13:                               ;   in Loop: Header=BB7_12 Depth=1
	v_ashrrev_i32_e32 v1, 31, v12
	v_add_u32_e32 v3, v12, v1
	v_xor_b32_e32 v3, v3, v1
	v_mul_hi_u32 v4, v3, v14
	v_xor_b32_e32 v1, s50, v1
	v_mul_lo_u32 v5, v4, s51
	v_add_u32_e32 v6, 1, v4
	v_sub_u32_e32 v3, v3, v5
	v_subrev_u32_e32 v5, s51, v3
	v_cmp_le_u32_e32 vcc, s51, v3
	v_cndmask_b32_e32 v3, v3, v5, vcc
	v_cndmask_b32_e32 v4, v4, v6, vcc
	v_add_u32_e32 v5, 1, v4
	v_cmp_le_u32_e32 vcc, s51, v3
	v_cndmask_b32_e32 v3, v4, v5, vcc
	v_xor_b32_e32 v3, v3, v1
	v_sub_u32_e32 v3, v3, v1
	v_ashrrev_i32_e32 v4, 31, v3
.LBB7_14:                               ;   in Loop: Header=BB7_12 Depth=1
	s_andn2_saveexec_b64 s[2:3], s[2:3]
	s_cbranch_execz .LBB7_16
; %bb.15:                               ;   in Loop: Header=BB7_12 Depth=1
	v_mul_hi_u32 v1, v12, v15
	v_mul_lo_u32 v3, v1, s40
	v_add_u32_e32 v4, 1, v1
	v_sub_u32_e32 v3, v12, v3
	v_subrev_u32_e32 v5, s40, v3
	v_cmp_le_u32_e32 vcc, s40, v3
	v_cndmask_b32_e32 v3, v3, v5, vcc
	v_cndmask_b32_e32 v1, v1, v4, vcc
	v_add_u32_e32 v4, 1, v1
	v_cmp_le_u32_e32 vcc, s40, v3
	v_cndmask_b32_e32 v1, v1, v4, vcc
	v_mov_b32_e32 v4, v2
	v_mov_b32_e32 v3, v1
.LBB7_16:                               ;   in Loop: Header=BB7_12 Depth=1
	s_or_b64 exec, exec, s[2:3]
	v_mul_lo_u32 v1, v4, s40
	v_mul_lo_u32 v6, v3, s39
	v_mad_u64_u32 v[4:5], s[2:3], v3, s40, 0
	v_add3_u32 v1, v5, v6, v1
	v_sub_co_u32_e32 v4, vcc, v12, v4
	v_subb_co_u32_e32 v1, vcc, v8, v1, vcc
	v_mul_lo_u32 v1, v1, s48
	v_mul_lo_u32 v5, v4, s47
	v_mad_u64_u32 v[6:7], s[2:3], v4, s48, 0
	v_mov_b32_e32 v4, v2
	v_add3_u32 v7, v7, v5, v1
	v_or_b32_e32 v5, s39, v7
	v_cmp_ne_u64_e32 vcc, 0, v[4:5]
                                        ; implicit-def: $vgpr4_vgpr5
	s_and_saveexec_b64 s[2:3], vcc
	s_xor_b64 s[4:5], exec, s[2:3]
	s_cbranch_execz .LBB7_18
; %bb.17:                               ;   in Loop: Header=BB7_12 Depth=1
	s_add_u32 s2, s40, s20
	s_mov_b32 s21, s20
	s_addc_u32 s3, s39, s20
	s_xor_b64 s[6:7], s[2:3], s[20:21]
	v_cvt_f32_u32_e32 v1, s6
	v_cvt_f32_u32_e32 v4, s7
	s_sub_u32 s15, 0, s6
	s_subb_u32 s21, 0, s7
	v_mac_f32_e32 v1, 0x4f800000, v4
	v_rcp_f32_e32 v1, v1
	v_mul_f32_e32 v1, 0x5f7ffffc, v1
	v_mul_f32_e32 v4, 0x2f800000, v1
	v_trunc_f32_e32 v4, v4
	v_mac_f32_e32 v1, 0xcf800000, v4
	v_cvt_u32_f32_e32 v4, v4
	v_cvt_u32_f32_e32 v1, v1
	v_readfirstlane_b32 s22, v4
	v_readfirstlane_b32 s2, v1
	s_mul_i32 s3, s15, s22
	s_mul_hi_u32 s24, s15, s2
	s_mul_i32 s23, s21, s2
	s_add_i32 s3, s24, s3
	s_add_i32 s3, s3, s23
	s_mul_i32 s25, s15, s2
	s_mul_i32 s24, s2, s3
	s_mul_hi_u32 s26, s2, s25
	s_mul_hi_u32 s23, s2, s3
	s_add_u32 s24, s26, s24
	s_addc_u32 s23, 0, s23
	s_mul_hi_u32 s27, s22, s25
	s_mul_i32 s25, s22, s25
	s_add_u32 s24, s24, s25
	s_mul_hi_u32 s26, s22, s3
	s_addc_u32 s23, s23, s27
	s_addc_u32 s24, s26, 0
	s_mul_i32 s3, s22, s3
	s_add_u32 s3, s23, s3
	s_addc_u32 s23, 0, s24
	s_add_u32 s24, s2, s3
	s_cselect_b64 s[2:3], -1, 0
	s_cmp_lg_u64 s[2:3], 0
	s_addc_u32 s22, s22, s23
	s_mul_i32 s2, s15, s22
	s_mul_hi_u32 s3, s15, s24
	s_add_i32 s2, s3, s2
	s_mul_i32 s21, s21, s24
	s_add_i32 s2, s2, s21
	s_mul_i32 s15, s15, s24
	s_mul_hi_u32 s21, s22, s15
	s_mul_i32 s23, s22, s15
	s_mul_i32 s26, s24, s2
	s_mul_hi_u32 s15, s24, s15
	s_mul_hi_u32 s25, s24, s2
	s_add_u32 s15, s15, s26
	s_addc_u32 s25, 0, s25
	s_add_u32 s15, s15, s23
	s_mul_hi_u32 s3, s22, s2
	s_addc_u32 s15, s25, s21
	s_addc_u32 s3, s3, 0
	s_mul_i32 s2, s22, s2
	s_add_u32 s2, s15, s2
	s_addc_u32 s15, 0, s3
	s_add_u32 s21, s24, s2
	s_cselect_b64 s[2:3], -1, 0
	v_ashrrev_i32_e32 v1, 31, v7
	s_cmp_lg_u64 s[2:3], 0
	v_add_co_u32_e32 v4, vcc, v6, v1
	s_addc_u32 s15, s22, s15
	v_xor_b32_e32 v9, v4, v1
	v_addc_co_u32_e32 v6, vcc, v7, v1, vcc
	v_mad_u64_u32 v[4:5], s[2:3], v9, s15, 0
	v_mul_hi_u32 v7, v9, s21
	v_xor_b32_e32 v10, v6, v1
	v_xor_b32_e32 v1, s20, v1
	v_add_co_u32_e32 v11, vcc, v7, v4
	v_addc_co_u32_e32 v17, vcc, 0, v5, vcc
	v_mad_u64_u32 v[4:5], s[2:3], v10, s21, 0
	v_mad_u64_u32 v[6:7], s[2:3], v10, s15, 0
	v_add_co_u32_e32 v4, vcc, v11, v4
	v_addc_co_u32_e32 v4, vcc, v17, v5, vcc
	v_addc_co_u32_e32 v5, vcc, 0, v7, vcc
	v_add_co_u32_e32 v6, vcc, v4, v6
	v_addc_co_u32_e32 v4, vcc, 0, v5, vcc
	v_mul_lo_u32 v7, s7, v6
	v_mul_lo_u32 v11, s6, v4
	v_mad_u64_u32 v[4:5], s[2:3], s6, v6, 0
	v_add3_u32 v5, v5, v11, v7
	v_sub_u32_e32 v7, v10, v5
	v_mov_b32_e32 v11, s7
	v_sub_co_u32_e32 v4, vcc, v9, v4
	v_subb_co_u32_e64 v7, s[2:3], v7, v11, vcc
	v_subrev_co_u32_e64 v9, s[2:3], s6, v4
	v_subbrev_co_u32_e64 v7, s[2:3], 0, v7, s[2:3]
	v_cmp_le_u32_e64 s[2:3], s7, v7
	v_subb_co_u32_e32 v5, vcc, v10, v5, vcc
	v_cndmask_b32_e64 v11, 0, -1, s[2:3]
	v_cmp_le_u32_e64 s[2:3], s6, v9
	v_cmp_le_u32_e32 vcc, s7, v5
	v_cndmask_b32_e64 v9, 0, -1, s[2:3]
	v_cmp_eq_u32_e64 s[2:3], s7, v7
	v_cndmask_b32_e64 v10, 0, -1, vcc
	v_cmp_le_u32_e32 vcc, s6, v4
	v_cndmask_b32_e64 v7, v11, v9, s[2:3]
	v_cndmask_b32_e64 v4, 0, -1, vcc
	v_cmp_eq_u32_e32 vcc, s7, v5
	v_add_co_u32_e64 v9, s[2:3], 2, v6
	v_add_co_u32_e64 v11, s[2:3], 1, v6
	v_cndmask_b32_e32 v4, v10, v4, vcc
	v_cmp_ne_u32_e32 vcc, 0, v7
	v_cndmask_b32_e32 v5, v11, v9, vcc
	v_cmp_ne_u32_e32 vcc, 0, v4
	v_cndmask_b32_e32 v4, v6, v5, vcc
	v_xor_b32_e32 v4, v4, v1
	v_sub_co_u32_e32 v4, vcc, v4, v1
                                        ; implicit-def: $vgpr6_vgpr7
.LBB7_18:                               ;   in Loop: Header=BB7_12 Depth=1
	s_andn2_saveexec_b64 s[2:3], s[4:5]
	s_cbranch_execz .LBB7_20
; %bb.19:                               ;   in Loop: Header=BB7_12 Depth=1
	v_mul_hi_u32 v1, v6, v15
	v_mul_lo_u32 v4, v1, s40
	v_add_u32_e32 v5, 1, v1
	v_sub_u32_e32 v4, v6, v4
	v_subrev_u32_e32 v6, s40, v4
	v_cmp_le_u32_e32 vcc, s40, v4
	v_cndmask_b32_e32 v4, v4, v6, vcc
	v_cndmask_b32_e32 v1, v1, v5, vcc
	v_add_u32_e32 v5, 1, v1
	v_cmp_le_u32_e32 vcc, s40, v4
	v_cndmask_b32_e32 v4, v1, v5, vcc
.LBB7_20:                               ;   in Loop: Header=BB7_12 Depth=1
	s_or_b64 exec, exec, s[2:3]
	v_add_co_u32_e32 v1, vcc, 1, v12
	v_addc_co_u32_e32 v5, vcc, 0, v8, vcc
	v_mul_lo_u32 v7, v1, s47
	v_mul_lo_u32 v8, v5, s48
	v_mad_u64_u32 v[5:6], s[2:3], v1, s48, -1
	v_add3_u32 v6, v8, v6, v7
	v_or_b32_e32 v8, s39, v6
	v_mov_b32_e32 v7, v2
	v_cmp_ne_u64_e32 vcc, 0, v[7:8]
                                        ; implicit-def: $vgpr7_vgpr8
	s_and_saveexec_b64 s[2:3], vcc
	s_xor_b64 s[4:5], exec, s[2:3]
	s_cbranch_execnz .LBB7_23
; %bb.21:                               ;   in Loop: Header=BB7_12 Depth=1
	s_andn2_saveexec_b64 s[2:3], s[4:5]
	s_cbranch_execnz .LBB7_24
.LBB7_22:                               ;   in Loop: Header=BB7_12 Depth=1
	s_or_b64 exec, exec, s[2:3]
	s_and_saveexec_b64 s[22:23], s[0:1]
	s_cbranch_execz .LBB7_11
	s_branch .LBB7_25
.LBB7_23:                               ;   in Loop: Header=BB7_12 Depth=1
	s_add_u32 s2, s40, s20
	s_mov_b32 s21, s20
	s_addc_u32 s3, s39, s20
	s_xor_b64 s[6:7], s[2:3], s[20:21]
	v_cvt_f32_u32_e32 v1, s6
	v_cvt_f32_u32_e32 v7, s7
	s_sub_u32 s15, 0, s6
	s_subb_u32 s21, 0, s7
	v_mac_f32_e32 v1, 0x4f800000, v7
	v_rcp_f32_e32 v1, v1
	v_mul_f32_e32 v1, 0x5f7ffffc, v1
	v_mul_f32_e32 v7, 0x2f800000, v1
	v_trunc_f32_e32 v7, v7
	v_mac_f32_e32 v1, 0xcf800000, v7
	v_cvt_u32_f32_e32 v7, v7
	v_cvt_u32_f32_e32 v1, v1
	v_readfirstlane_b32 s22, v7
	v_readfirstlane_b32 s2, v1
	s_mul_i32 s3, s15, s22
	s_mul_hi_u32 s24, s15, s2
	s_mul_i32 s23, s21, s2
	s_add_i32 s3, s24, s3
	s_add_i32 s3, s3, s23
	s_mul_i32 s25, s15, s2
	s_mul_i32 s24, s2, s3
	s_mul_hi_u32 s26, s2, s25
	s_mul_hi_u32 s23, s2, s3
	s_add_u32 s24, s26, s24
	s_addc_u32 s23, 0, s23
	s_mul_hi_u32 s27, s22, s25
	s_mul_i32 s25, s22, s25
	s_add_u32 s24, s24, s25
	s_mul_hi_u32 s26, s22, s3
	s_addc_u32 s23, s23, s27
	s_addc_u32 s24, s26, 0
	s_mul_i32 s3, s22, s3
	s_add_u32 s3, s23, s3
	s_addc_u32 s23, 0, s24
	s_add_u32 s24, s2, s3
	s_cselect_b64 s[2:3], -1, 0
	s_cmp_lg_u64 s[2:3], 0
	s_addc_u32 s22, s22, s23
	s_mul_i32 s2, s15, s22
	s_mul_hi_u32 s3, s15, s24
	s_add_i32 s2, s3, s2
	s_mul_i32 s21, s21, s24
	s_add_i32 s2, s2, s21
	s_mul_i32 s15, s15, s24
	s_mul_hi_u32 s21, s22, s15
	s_mul_i32 s23, s22, s15
	s_mul_i32 s26, s24, s2
	s_mul_hi_u32 s15, s24, s15
	s_mul_hi_u32 s25, s24, s2
	s_add_u32 s15, s15, s26
	s_addc_u32 s25, 0, s25
	s_add_u32 s15, s15, s23
	s_mul_hi_u32 s3, s22, s2
	s_addc_u32 s15, s25, s21
	s_addc_u32 s3, s3, 0
	s_mul_i32 s2, s22, s2
	s_add_u32 s2, s15, s2
	s_addc_u32 s15, 0, s3
	s_add_u32 s21, s24, s2
	s_cselect_b64 s[2:3], -1, 0
	v_ashrrev_i32_e32 v1, 31, v6
	s_cmp_lg_u64 s[2:3], 0
	v_add_co_u32_e32 v5, vcc, v5, v1
	s_addc_u32 s15, s22, s15
	v_xor_b32_e32 v9, v5, v1
	v_addc_co_u32_e32 v7, vcc, v6, v1, vcc
	v_mad_u64_u32 v[5:6], s[2:3], v9, s15, 0
	v_mul_hi_u32 v8, v9, s21
	v_xor_b32_e32 v10, v7, v1
	v_xor_b32_e32 v1, s20, v1
	v_add_co_u32_e32 v11, vcc, v8, v5
	v_addc_co_u32_e32 v17, vcc, 0, v6, vcc
	v_mad_u64_u32 v[5:6], s[2:3], v10, s21, 0
	v_mad_u64_u32 v[7:8], s[2:3], v10, s15, 0
	v_add_co_u32_e32 v5, vcc, v11, v5
	v_addc_co_u32_e32 v5, vcc, v17, v6, vcc
	v_addc_co_u32_e32 v6, vcc, 0, v8, vcc
	v_add_co_u32_e32 v7, vcc, v5, v7
	v_addc_co_u32_e32 v5, vcc, 0, v6, vcc
	v_mul_lo_u32 v8, s7, v7
	v_mul_lo_u32 v11, s6, v5
	v_mad_u64_u32 v[5:6], s[2:3], s6, v7, 0
	v_add3_u32 v6, v6, v11, v8
	v_sub_u32_e32 v8, v10, v6
	v_mov_b32_e32 v11, s7
	v_sub_co_u32_e32 v5, vcc, v9, v5
	v_subb_co_u32_e64 v8, s[2:3], v8, v11, vcc
	v_subrev_co_u32_e64 v9, s[2:3], s6, v5
	v_subbrev_co_u32_e64 v8, s[2:3], 0, v8, s[2:3]
	v_cmp_le_u32_e64 s[2:3], s7, v8
	v_subb_co_u32_e32 v6, vcc, v10, v6, vcc
	v_cndmask_b32_e64 v11, 0, -1, s[2:3]
	v_cmp_le_u32_e64 s[2:3], s6, v9
	v_cmp_le_u32_e32 vcc, s7, v6
	v_cndmask_b32_e64 v9, 0, -1, s[2:3]
	v_cmp_eq_u32_e64 s[2:3], s7, v8
	v_cndmask_b32_e64 v10, 0, -1, vcc
	v_cmp_le_u32_e32 vcc, s6, v5
	v_cndmask_b32_e64 v8, v11, v9, s[2:3]
	v_cndmask_b32_e64 v5, 0, -1, vcc
	v_cmp_eq_u32_e32 vcc, s7, v6
	v_add_co_u32_e64 v9, s[2:3], 2, v7
	v_add_co_u32_e64 v11, s[2:3], 1, v7
	v_cndmask_b32_e32 v5, v10, v5, vcc
	v_cmp_ne_u32_e32 vcc, 0, v8
	v_cndmask_b32_e32 v6, v11, v9, vcc
	v_cmp_ne_u32_e32 vcc, 0, v5
	v_cndmask_b32_e32 v5, v7, v6, vcc
	v_xor_b32_e32 v5, v5, v1
	v_sub_co_u32_e32 v7, vcc, v5, v1
                                        ; implicit-def: $vgpr5_vgpr6
	s_andn2_saveexec_b64 s[2:3], s[4:5]
	s_cbranch_execz .LBB7_22
.LBB7_24:                               ;   in Loop: Header=BB7_12 Depth=1
	v_mul_hi_u32 v1, v5, v15
	v_mul_lo_u32 v6, v1, s40
	v_add_u32_e32 v7, 1, v1
	v_sub_u32_e32 v5, v5, v6
	v_subrev_u32_e32 v6, s40, v5
	v_cmp_le_u32_e32 vcc, s40, v5
	v_cndmask_b32_e32 v5, v5, v6, vcc
	v_cndmask_b32_e32 v1, v1, v7, vcc
	v_add_u32_e32 v6, 1, v1
	v_cmp_le_u32_e32 vcc, s40, v5
	v_cndmask_b32_e32 v7, v1, v6, vcc
	s_or_b64 exec, exec, s[2:3]
	s_and_saveexec_b64 s[22:23], s[0:1]
	s_cbranch_execz .LBB7_11
.LBB7_25:                               ;   in Loop: Header=BB7_12 Depth=1
	v_mad_u64_u32 v[3:4], s[2:3], v3, s48, v[4:5]
	v_mul_lo_u32 v6, v12, s13
	v_mov_b32_e32 v1, s38
	v_mul_lo_u32 v4, s10, v3
	v_sub_u32_e32 v3, v7, v3
	v_add_u32_e32 v17, 1, v3
	v_ashrrev_i32_e32 v7, 31, v6
	v_ashrrev_i32_e32 v5, 31, v4
	v_lshlrev_b64 v[3:4], 1, v[4:5]
	v_cvt_f32_i32_e32 v5, v17
	v_add_co_u32_e32 v18, vcc, s33, v3
	v_addc_co_u32_e32 v19, vcc, v1, v4, vcc
	v_lshlrev_b64 v[3:4], 1, v[6:7]
	v_mov_b32_e32 v1, s44
	v_add_co_u32_e32 v20, vcc, s43, v3
	v_addc_co_u32_e32 v21, vcc, v1, v4, vcc
	v_bfe_u32 v1, v5, 16, 1
	v_add3_u32 v1, v5, v1, s52
	v_and_b32_e32 v22, 0xffff0000, v1
	v_cmp_lt_i32_e64 s[2:3], 0, v17
	s_mov_b64 s[24:25], 0
	v_mov_b32_e32 v3, v0
	s_branch .LBB7_27
.LBB7_26:                               ;   in Loop: Header=BB7_27 Depth=2
	v_add_u32_e32 v3, s46, v3
	v_cmp_le_i32_e32 vcc, s13, v3
	s_or_b64 s[24:25], vcc, s[24:25]
	s_andn2_b64 exec, exec, s[24:25]
	s_cbranch_execz .LBB7_11
.LBB7_27:                               ;   Parent Loop BB7_12 Depth=1
                                        ; =>  This Loop Header: Depth=2
                                        ;       Child Loop BB7_42 Depth 3
                                        ;         Child Loop BB7_45 Depth 4
                                        ;           Child Loop BB7_47 Depth 5
                                        ;             Child Loop BB7_48 Depth 6
	s_mov_b32 s15, s41
	s_cmp_lg_u64 s[14:15], 0
	v_mov_b32_e32 v4, v2
	s_cselect_b64 s[4:5], -1, 0
                                        ; implicit-def: $vgpr5_vgpr6
	s_and_saveexec_b64 s[6:7], s[4:5]
	s_xor_b64 s[6:7], exec, s[6:7]
	s_cbranch_execz .LBB7_29
; %bb.28:                               ;   in Loop: Header=BB7_27 Depth=2
	s_ashr_i32 s26, s41, 31
	s_add_u32 s4, s42, s26
	s_mov_b32 s27, s26
	s_addc_u32 s5, s41, s26
	s_xor_b64 s[28:29], s[4:5], s[26:27]
	v_cvt_f32_u32_e32 v1, s28
	v_cvt_f32_u32_e32 v5, s29
	s_sub_u32 s15, 0, s28
	s_subb_u32 s21, 0, s29
	v_mac_f32_e32 v1, 0x4f800000, v5
	v_rcp_f32_e32 v1, v1
	v_mul_f32_e32 v1, 0x5f7ffffc, v1
	v_mul_f32_e32 v5, 0x2f800000, v1
	v_trunc_f32_e32 v5, v5
	v_mac_f32_e32 v1, 0xcf800000, v5
	v_cvt_u32_f32_e32 v5, v5
	v_cvt_u32_f32_e32 v1, v1
	v_readfirstlane_b32 s27, v5
	v_readfirstlane_b32 s4, v1
	s_mul_i32 s5, s15, s27
	s_mul_hi_u32 s31, s15, s4
	s_mul_i32 s30, s21, s4
	s_add_i32 s5, s31, s5
	s_add_i32 s5, s5, s30
	s_mul_i32 s34, s15, s4
	s_mul_i32 s31, s4, s5
	s_mul_hi_u32 s35, s4, s34
	s_mul_hi_u32 s30, s4, s5
	s_add_u32 s31, s35, s31
	s_addc_u32 s30, 0, s30
	s_mul_hi_u32 s36, s27, s34
	s_mul_i32 s34, s27, s34
	s_add_u32 s31, s31, s34
	s_mul_hi_u32 s35, s27, s5
	s_addc_u32 s30, s30, s36
	s_addc_u32 s31, s35, 0
	s_mul_i32 s5, s27, s5
	s_add_u32 s5, s30, s5
	s_addc_u32 s30, 0, s31
	s_add_u32 s31, s4, s5
	s_cselect_b64 s[4:5], -1, 0
	s_cmp_lg_u64 s[4:5], 0
	s_addc_u32 s27, s27, s30
	s_mul_i32 s4, s15, s27
	s_mul_hi_u32 s5, s15, s31
	s_add_i32 s4, s5, s4
	s_mul_i32 s21, s21, s31
	s_add_i32 s4, s4, s21
	s_mul_i32 s15, s15, s31
	s_mul_hi_u32 s21, s27, s15
	s_mul_i32 s30, s27, s15
	s_mul_i32 s35, s31, s4
	s_mul_hi_u32 s15, s31, s15
	s_mul_hi_u32 s34, s31, s4
	s_add_u32 s15, s15, s35
	s_addc_u32 s34, 0, s34
	s_add_u32 s15, s15, s30
	s_mul_hi_u32 s5, s27, s4
	s_addc_u32 s15, s34, s21
	s_addc_u32 s5, s5, 0
	s_mul_i32 s4, s27, s4
	s_add_u32 s4, s15, s4
	s_addc_u32 s15, 0, s5
	s_add_u32 s21, s31, s4
	s_cselect_b64 s[4:5], -1, 0
	s_cmp_lg_u64 s[4:5], 0
	s_addc_u32 s15, s27, s15
	v_add_co_u32_e32 v1, vcc, 0, v3
	v_mad_u64_u32 v[5:6], s[4:5], v1, s15, 0
	v_mul_hi_u32 v7, v1, s21
	v_addc_co_u32_e64 v9, s[4:5], 0, 0, vcc
	v_add_co_u32_e32 v10, vcc, v7, v5
	v_addc_co_u32_e32 v11, vcc, 0, v6, vcc
	v_mad_u64_u32 v[5:6], s[4:5], v9, s21, 0
	v_mad_u64_u32 v[7:8], s[4:5], v9, s15, 0
	v_add_co_u32_e32 v5, vcc, v10, v5
	v_addc_co_u32_e32 v5, vcc, v11, v6, vcc
	v_addc_co_u32_e32 v6, vcc, 0, v8, vcc
	v_add_co_u32_e32 v7, vcc, v5, v7
	v_addc_co_u32_e32 v8, vcc, 0, v6, vcc
	v_mul_lo_u32 v10, s29, v7
	v_mul_lo_u32 v11, s28, v8
	v_mad_u64_u32 v[5:6], s[4:5], s28, v7, 0
	v_add3_u32 v6, v6, v11, v10
	v_sub_u32_e32 v10, v9, v6
	v_mov_b32_e32 v11, s29
	v_sub_co_u32_e32 v1, vcc, v1, v5
	v_subb_co_u32_e64 v5, s[4:5], v10, v11, vcc
	v_subrev_co_u32_e64 v10, s[4:5], s28, v1
	v_subbrev_co_u32_e64 v5, s[4:5], 0, v5, s[4:5]
	v_cmp_le_u32_e64 s[4:5], s29, v5
	v_cndmask_b32_e64 v11, 0, -1, s[4:5]
	v_cmp_le_u32_e64 s[4:5], s28, v10
	v_cndmask_b32_e64 v10, 0, -1, s[4:5]
	v_cmp_eq_u32_e64 s[4:5], s29, v5
	v_cndmask_b32_e64 v5, v11, v10, s[4:5]
	v_add_co_u32_e64 v10, s[4:5], 2, v7
	v_subb_co_u32_e32 v6, vcc, v9, v6, vcc
	v_addc_co_u32_e64 v11, s[4:5], 0, v8, s[4:5]
	v_cmp_le_u32_e32 vcc, s29, v6
	v_add_co_u32_e64 v23, s[4:5], 1, v7
	v_cndmask_b32_e64 v9, 0, -1, vcc
	v_cmp_le_u32_e32 vcc, s28, v1
	v_addc_co_u32_e64 v24, s[4:5], 0, v8, s[4:5]
	v_cndmask_b32_e64 v1, 0, -1, vcc
	v_cmp_eq_u32_e32 vcc, s29, v6
	v_cmp_ne_u32_e64 s[4:5], 0, v5
	v_cndmask_b32_e32 v1, v9, v1, vcc
	v_cndmask_b32_e64 v5, v24, v11, s[4:5]
	v_cmp_ne_u32_e32 vcc, 0, v1
	v_cndmask_b32_e32 v1, v8, v5, vcc
	v_cndmask_b32_e64 v5, v23, v10, s[4:5]
	v_cndmask_b32_e32 v5, v7, v5, vcc
	v_xor_b32_e32 v5, s26, v5
	v_xor_b32_e32 v1, s26, v1
	v_mov_b32_e32 v6, s26
	v_subrev_co_u32_e32 v5, vcc, s26, v5
	v_subb_co_u32_e32 v6, vcc, v1, v6, vcc
.LBB7_29:                               ;   in Loop: Header=BB7_27 Depth=2
	s_andn2_saveexec_b64 s[4:5], s[6:7]
	s_cbranch_execz .LBB7_31
; %bb.30:                               ;   in Loop: Header=BB7_27 Depth=2
	v_cvt_f32_u32_e32 v1, s42
	s_sub_i32 s6, 0, s42
	v_rcp_iflag_f32_e32 v1, v1
	v_mul_f32_e32 v1, 0x4f7ffffe, v1
	v_cvt_u32_f32_e32 v1, v1
	v_mul_lo_u32 v5, s6, v1
	v_mul_hi_u32 v5, v1, v5
	v_add_u32_e32 v1, v1, v5
	v_mul_hi_u32 v1, v3, v1
	v_mul_lo_u32 v5, v1, s42
	v_add_u32_e32 v6, 1, v1
	v_sub_u32_e32 v5, v3, v5
	v_subrev_u32_e32 v7, s42, v5
	v_cmp_le_u32_e32 vcc, s42, v5
	v_cndmask_b32_e32 v5, v5, v7, vcc
	v_cndmask_b32_e32 v1, v1, v6, vcc
	v_add_u32_e32 v6, 1, v1
	v_cmp_le_u32_e32 vcc, s42, v5
	v_cndmask_b32_e32 v1, v1, v6, vcc
	v_mov_b32_e32 v6, v2
	v_mov_b32_e32 v5, v1
.LBB7_31:                               ;   in Loop: Header=BB7_27 Depth=2
	s_or_b64 exec, exec, s[4:5]
	v_mul_lo_u32 v1, v6, s42
	v_mul_lo_u32 v8, v5, s41
	v_mad_u64_u32 v[6:7], s[4:5], v5, s42, 0
	v_add3_u32 v1, v7, v8, v1
	v_sub_co_u32_e32 v6, vcc, v3, v6
	v_subb_co_u32_e32 v1, vcc, 0, v1, vcc
	v_mul_lo_u32 v1, v1, s10
	v_mul_lo_u32 v7, v6, s49
	v_mad_u64_u32 v[8:9], s[4:5], v6, s10, 0
	v_mov_b32_e32 v6, v2
	v_add3_u32 v9, v9, v7, v1
	v_or_b32_e32 v7, s41, v9
	v_cmp_ne_u64_e32 vcc, 0, v[6:7]
                                        ; implicit-def: $vgpr6_vgpr7
	s_and_saveexec_b64 s[4:5], vcc
	s_xor_b64 s[6:7], exec, s[4:5]
	s_cbranch_execz .LBB7_33
; %bb.32:                               ;   in Loop: Header=BB7_27 Depth=2
	s_ashr_i32 s26, s41, 31
	s_add_u32 s4, s42, s26
	s_mov_b32 s27, s26
	s_addc_u32 s5, s41, s26
	s_xor_b64 s[28:29], s[4:5], s[26:27]
	v_cvt_f32_u32_e32 v1, s28
	v_cvt_f32_u32_e32 v6, s29
	s_sub_u32 s15, 0, s28
	s_subb_u32 s21, 0, s29
	v_mac_f32_e32 v1, 0x4f800000, v6
	v_rcp_f32_e32 v1, v1
	v_mul_f32_e32 v1, 0x5f7ffffc, v1
	v_mul_f32_e32 v6, 0x2f800000, v1
	v_trunc_f32_e32 v6, v6
	v_mac_f32_e32 v1, 0xcf800000, v6
	v_cvt_u32_f32_e32 v6, v6
	v_cvt_u32_f32_e32 v1, v1
	v_readfirstlane_b32 s27, v6
	v_readfirstlane_b32 s4, v1
	s_mul_i32 s5, s15, s27
	s_mul_hi_u32 s31, s15, s4
	s_mul_i32 s30, s21, s4
	s_add_i32 s5, s31, s5
	s_add_i32 s5, s5, s30
	s_mul_i32 s34, s15, s4
	s_mul_i32 s31, s4, s5
	s_mul_hi_u32 s35, s4, s34
	s_mul_hi_u32 s30, s4, s5
	s_add_u32 s31, s35, s31
	s_addc_u32 s30, 0, s30
	s_mul_hi_u32 s36, s27, s34
	s_mul_i32 s34, s27, s34
	s_add_u32 s31, s31, s34
	s_mul_hi_u32 s35, s27, s5
	s_addc_u32 s30, s30, s36
	s_addc_u32 s31, s35, 0
	s_mul_i32 s5, s27, s5
	s_add_u32 s5, s30, s5
	s_addc_u32 s30, 0, s31
	s_add_u32 s31, s4, s5
	s_cselect_b64 s[4:5], -1, 0
	s_cmp_lg_u64 s[4:5], 0
	s_addc_u32 s27, s27, s30
	s_mul_i32 s4, s15, s27
	s_mul_hi_u32 s5, s15, s31
	s_add_i32 s4, s5, s4
	s_mul_i32 s21, s21, s31
	s_add_i32 s4, s4, s21
	s_mul_i32 s15, s15, s31
	s_mul_hi_u32 s21, s27, s15
	s_mul_i32 s30, s27, s15
	s_mul_i32 s35, s31, s4
	s_mul_hi_u32 s15, s31, s15
	s_mul_hi_u32 s34, s31, s4
	s_add_u32 s15, s15, s35
	s_addc_u32 s34, 0, s34
	s_add_u32 s15, s15, s30
	s_mul_hi_u32 s5, s27, s4
	s_addc_u32 s15, s34, s21
	s_addc_u32 s5, s5, 0
	s_mul_i32 s4, s27, s4
	s_add_u32 s4, s15, s4
	s_addc_u32 s15, 0, s5
	s_add_u32 s21, s31, s4
	s_cselect_b64 s[4:5], -1, 0
	v_ashrrev_i32_e32 v1, 31, v9
	s_cmp_lg_u64 s[4:5], 0
	v_add_co_u32_e32 v6, vcc, v8, v1
	s_addc_u32 s15, s27, s15
	v_xor_b32_e32 v10, v6, v1
	v_addc_co_u32_e32 v8, vcc, v9, v1, vcc
	v_mad_u64_u32 v[6:7], s[4:5], v10, s15, 0
	v_mul_hi_u32 v9, v10, s21
	v_xor_b32_e32 v11, v8, v1
	v_xor_b32_e32 v1, s26, v1
	v_add_co_u32_e32 v23, vcc, v9, v6
	v_addc_co_u32_e32 v24, vcc, 0, v7, vcc
	v_mad_u64_u32 v[6:7], s[4:5], v11, s21, 0
	v_mad_u64_u32 v[8:9], s[4:5], v11, s15, 0
	v_add_co_u32_e32 v6, vcc, v23, v6
	v_addc_co_u32_e32 v6, vcc, v24, v7, vcc
	v_addc_co_u32_e32 v7, vcc, 0, v9, vcc
	v_add_co_u32_e32 v8, vcc, v6, v8
	v_addc_co_u32_e32 v9, vcc, 0, v7, vcc
	v_mul_lo_u32 v23, s29, v8
	v_mul_lo_u32 v24, s28, v9
	v_mad_u64_u32 v[6:7], s[4:5], s28, v8, 0
	v_add3_u32 v7, v7, v24, v23
	v_sub_u32_e32 v23, v11, v7
	v_mov_b32_e32 v24, s29
	v_sub_co_u32_e32 v6, vcc, v10, v6
	v_subb_co_u32_e64 v10, s[4:5], v23, v24, vcc
	v_subrev_co_u32_e64 v23, s[4:5], s28, v6
	v_subbrev_co_u32_e64 v10, s[4:5], 0, v10, s[4:5]
	v_cmp_le_u32_e64 s[4:5], s29, v10
	v_cndmask_b32_e64 v24, 0, -1, s[4:5]
	v_cmp_le_u32_e64 s[4:5], s28, v23
	v_cndmask_b32_e64 v23, 0, -1, s[4:5]
	v_cmp_eq_u32_e64 s[4:5], s29, v10
	v_cndmask_b32_e64 v10, v24, v23, s[4:5]
	v_add_co_u32_e64 v23, s[4:5], 2, v8
	v_subb_co_u32_e32 v7, vcc, v11, v7, vcc
	v_addc_co_u32_e64 v24, s[4:5], 0, v9, s[4:5]
	v_cmp_le_u32_e32 vcc, s29, v7
	v_add_co_u32_e64 v25, s[4:5], 1, v8
	v_cndmask_b32_e64 v11, 0, -1, vcc
	v_cmp_le_u32_e32 vcc, s28, v6
	v_addc_co_u32_e64 v26, s[4:5], 0, v9, s[4:5]
	v_cndmask_b32_e64 v6, 0, -1, vcc
	v_cmp_eq_u32_e32 vcc, s29, v7
	v_cmp_ne_u32_e64 s[4:5], 0, v10
	v_cndmask_b32_e32 v6, v11, v6, vcc
	v_cndmask_b32_e64 v10, v26, v24, s[4:5]
	v_cmp_ne_u32_e32 vcc, 0, v6
	v_cndmask_b32_e64 v7, v25, v23, s[4:5]
	v_cndmask_b32_e32 v6, v9, v10, vcc
	v_cndmask_b32_e32 v7, v8, v7, vcc
	v_xor_b32_e32 v8, v6, v1
	v_xor_b32_e32 v6, v7, v1
	v_sub_co_u32_e32 v6, vcc, v6, v1
	v_subb_co_u32_e32 v7, vcc, v8, v1, vcc
                                        ; implicit-def: $vgpr8_vgpr9
.LBB7_33:                               ;   in Loop: Header=BB7_27 Depth=2
	s_andn2_saveexec_b64 s[4:5], s[6:7]
	s_cbranch_execz .LBB7_35
; %bb.34:                               ;   in Loop: Header=BB7_27 Depth=2
	v_cvt_f32_u32_e32 v1, s42
	s_sub_i32 s6, 0, s42
	v_rcp_iflag_f32_e32 v1, v1
	v_mul_f32_e32 v1, 0x4f7ffffe, v1
	v_cvt_u32_f32_e32 v1, v1
	v_mul_lo_u32 v6, s6, v1
	v_mul_hi_u32 v6, v1, v6
	v_add_u32_e32 v1, v1, v6
	v_mul_hi_u32 v1, v8, v1
	v_mul_lo_u32 v6, v1, s42
	v_add_u32_e32 v7, 1, v1
	v_sub_u32_e32 v6, v8, v6
	v_subrev_u32_e32 v8, s42, v6
	v_cmp_le_u32_e32 vcc, s42, v6
	v_cndmask_b32_e32 v6, v6, v8, vcc
	v_cndmask_b32_e32 v1, v1, v7, vcc
	v_add_u32_e32 v7, 1, v1
	v_cmp_le_u32_e32 vcc, s42, v6
	v_cndmask_b32_e32 v1, v1, v7, vcc
	v_mov_b32_e32 v7, v2
	v_mov_b32_e32 v6, v1
.LBB7_35:                               ;   in Loop: Header=BB7_27 Depth=2
	s_or_b64 exec, exec, s[4:5]
	v_add_u32_e32 v10, 1, v3
	v_mad_u64_u32 v[8:9], s[4:5], v10, s10, -1
	v_mov_b32_e32 v1, v9
	v_mad_u64_u32 v[9:10], s[4:5], v10, s49, v[1:2]
	v_mov_b32_e32 v10, v2
	v_or_b32_e32 v11, s41, v9
	v_cmp_ne_u64_e32 vcc, 0, v[10:11]
	v_mov_b32_e32 v1, v9
                                        ; implicit-def: $vgpr10_vgpr11
	s_and_saveexec_b64 s[4:5], vcc
	s_xor_b64 s[6:7], exec, s[4:5]
	s_cbranch_execnz .LBB7_38
; %bb.36:                               ;   in Loop: Header=BB7_27 Depth=2
	s_andn2_saveexec_b64 s[4:5], s[6:7]
	s_cbranch_execnz .LBB7_39
.LBB7_37:                               ;   in Loop: Header=BB7_27 Depth=2
	s_or_b64 exec, exec, s[4:5]
	s_andn2_b64 vcc, exec, s[8:9]
	s_cbranch_vccz .LBB7_40
	s_branch .LBB7_26
.LBB7_38:                               ;   in Loop: Header=BB7_27 Depth=2
	s_ashr_i32 s26, s41, 31
	s_add_u32 s4, s42, s26
	s_mov_b32 s27, s26
	s_addc_u32 s5, s41, s26
	s_xor_b64 s[28:29], s[4:5], s[26:27]
	v_cvt_f32_u32_e32 v9, s28
	v_cvt_f32_u32_e32 v10, s29
	s_sub_u32 s15, 0, s28
	s_subb_u32 s21, 0, s29
	v_ashrrev_i32_e32 v23, 31, v1
	v_mac_f32_e32 v9, 0x4f800000, v10
	v_rcp_f32_e32 v9, v9
	v_add_co_u32_e32 v8, vcc, v8, v23
	v_xor_b32_e32 v24, v8, v23
	v_mul_f32_e32 v9, 0x5f7ffffc, v9
	v_mul_f32_e32 v10, 0x2f800000, v9
	v_trunc_f32_e32 v10, v10
	v_mac_f32_e32 v9, 0xcf800000, v10
	v_cvt_u32_f32_e32 v10, v10
	v_cvt_u32_f32_e32 v9, v9
	v_addc_co_u32_e32 v1, vcc, v1, v23, vcc
	v_readfirstlane_b32 s27, v10
	v_readfirstlane_b32 s4, v9
	s_mul_i32 s5, s15, s27
	s_mul_hi_u32 s31, s15, s4
	s_mul_i32 s30, s21, s4
	s_add_i32 s5, s31, s5
	s_add_i32 s5, s5, s30
	s_mul_i32 s34, s15, s4
	s_mul_i32 s31, s4, s5
	s_mul_hi_u32 s35, s4, s34
	s_mul_hi_u32 s30, s4, s5
	s_add_u32 s31, s35, s31
	s_addc_u32 s30, 0, s30
	s_mul_hi_u32 s36, s27, s34
	s_mul_i32 s34, s27, s34
	s_add_u32 s31, s31, s34
	s_mul_hi_u32 s35, s27, s5
	s_addc_u32 s30, s30, s36
	s_addc_u32 s31, s35, 0
	s_mul_i32 s5, s27, s5
	s_add_u32 s5, s30, s5
	s_addc_u32 s30, 0, s31
	s_add_u32 s31, s4, s5
	s_cselect_b64 s[4:5], -1, 0
	s_cmp_lg_u64 s[4:5], 0
	s_addc_u32 s27, s27, s30
	s_mul_i32 s4, s15, s27
	s_mul_hi_u32 s5, s15, s31
	s_add_i32 s4, s5, s4
	s_mul_i32 s21, s21, s31
	s_add_i32 s4, s4, s21
	s_mul_i32 s15, s15, s31
	s_mul_hi_u32 s21, s27, s15
	s_mul_i32 s30, s27, s15
	s_mul_i32 s35, s31, s4
	s_mul_hi_u32 s15, s31, s15
	s_mul_hi_u32 s34, s31, s4
	s_add_u32 s15, s15, s35
	s_addc_u32 s34, 0, s34
	s_add_u32 s15, s15, s30
	s_mul_hi_u32 s5, s27, s4
	s_addc_u32 s15, s34, s21
	s_addc_u32 s5, s5, 0
	s_mul_i32 s4, s27, s4
	s_add_u32 s4, s15, s4
	s_addc_u32 s15, 0, s5
	s_add_u32 s21, s31, s4
	s_cselect_b64 s[4:5], -1, 0
	s_cmp_lg_u64 s[4:5], 0
	s_addc_u32 s15, s27, s15
	v_mad_u64_u32 v[8:9], s[4:5], v24, s15, 0
	v_mul_hi_u32 v10, v24, s21
	v_xor_b32_e32 v1, v1, v23
	v_add_co_u32_e32 v25, vcc, v10, v8
	v_addc_co_u32_e32 v26, vcc, 0, v9, vcc
	v_mad_u64_u32 v[8:9], s[4:5], v1, s21, 0
	v_mad_u64_u32 v[10:11], s[4:5], v1, s15, 0
	v_add_co_u32_e32 v8, vcc, v25, v8
	v_addc_co_u32_e32 v8, vcc, v26, v9, vcc
	v_addc_co_u32_e32 v9, vcc, 0, v11, vcc
	v_add_co_u32_e32 v10, vcc, v8, v10
	v_addc_co_u32_e32 v8, vcc, 0, v9, vcc
	v_mul_lo_u32 v11, s29, v10
	v_mul_lo_u32 v25, s28, v8
	v_mad_u64_u32 v[8:9], s[4:5], s28, v10, 0
	v_add3_u32 v9, v9, v25, v11
	v_sub_u32_e32 v11, v1, v9
	v_mov_b32_e32 v25, s29
	v_sub_co_u32_e32 v8, vcc, v24, v8
	v_subb_co_u32_e64 v11, s[4:5], v11, v25, vcc
	v_subrev_co_u32_e64 v24, s[4:5], s28, v8
	v_subbrev_co_u32_e64 v11, s[4:5], 0, v11, s[4:5]
	v_cmp_le_u32_e64 s[4:5], s29, v11
	v_subb_co_u32_e32 v1, vcc, v1, v9, vcc
	v_cndmask_b32_e64 v25, 0, -1, s[4:5]
	v_cmp_le_u32_e64 s[4:5], s28, v24
	v_cmp_le_u32_e32 vcc, s29, v1
	v_cndmask_b32_e64 v24, 0, -1, s[4:5]
	v_cmp_eq_u32_e64 s[4:5], s29, v11
	v_cndmask_b32_e64 v9, 0, -1, vcc
	v_cmp_le_u32_e32 vcc, s28, v8
	v_cndmask_b32_e64 v11, v25, v24, s[4:5]
	v_cndmask_b32_e64 v8, 0, -1, vcc
	v_cmp_eq_u32_e32 vcc, s29, v1
	v_add_co_u32_e64 v24, s[4:5], 2, v10
	v_add_co_u32_e64 v25, s[4:5], 1, v10
	v_cndmask_b32_e32 v1, v9, v8, vcc
	v_cmp_ne_u32_e32 vcc, 0, v11
	v_cndmask_b32_e32 v8, v25, v24, vcc
	v_cmp_ne_u32_e32 vcc, 0, v1
	v_cndmask_b32_e32 v1, v10, v8, vcc
	v_xor_b32_e32 v8, s26, v23
	v_xor_b32_e32 v1, v1, v8
	v_sub_co_u32_e32 v10, vcc, v1, v8
                                        ; implicit-def: $vgpr8_vgpr9
	s_andn2_saveexec_b64 s[4:5], s[6:7]
	s_cbranch_execz .LBB7_37
.LBB7_39:                               ;   in Loop: Header=BB7_27 Depth=2
	v_cvt_f32_u32_e32 v1, s42
	s_sub_i32 s6, 0, s42
	v_rcp_iflag_f32_e32 v1, v1
	v_mul_f32_e32 v1, 0x4f7ffffe, v1
	v_cvt_u32_f32_e32 v1, v1
	v_mul_lo_u32 v9, s6, v1
	v_mul_hi_u32 v9, v1, v9
	v_add_u32_e32 v1, v1, v9
	v_mul_hi_u32 v1, v8, v1
	v_mul_lo_u32 v9, v1, s42
	v_add_u32_e32 v10, 1, v1
	v_sub_u32_e32 v8, v8, v9
	v_subrev_u32_e32 v9, s42, v8
	v_cmp_le_u32_e32 vcc, s42, v8
	v_cndmask_b32_e32 v8, v8, v9, vcc
	v_cndmask_b32_e32 v1, v1, v10, vcc
	v_add_u32_e32 v9, 1, v1
	v_cmp_le_u32_e32 vcc, s42, v8
	v_cndmask_b32_e32 v10, v1, v9, vcc
	s_or_b64 exec, exec, s[4:5]
	s_andn2_b64 vcc, exec, s[8:9]
	s_cbranch_vccnz .LBB7_26
.LBB7_40:                               ;   in Loop: Header=BB7_27 Depth=2
	v_lshlrev_b64 v[8:9], 1, v[3:4]
	s_mov_b32 s15, 0
	v_add_co_u32_e32 v8, vcc, v20, v8
	v_addc_co_u32_e32 v9, vcc, v21, v9, vcc
	global_load_ushort v1, v[8:9], off
	s_waitcnt vmcnt(0)
	v_lshlrev_b32_e32 v1, 16, v1
	v_div_scale_f32 v4, s[4:5], v13, v13, v1
	v_div_scale_f32 v8, vcc, v1, v13, v1
	v_rcp_f32_e32 v9, v4
	v_fma_f32 v11, -v4, v9, 1.0
	v_fmac_f32_e32 v9, v11, v9
	v_mul_f32_e32 v11, v8, v9
	v_fma_f32 v23, -v4, v11, v8
	v_fmac_f32_e32 v11, v23, v9
	v_fma_f32 v4, -v4, v11, v8
	v_div_fmas_f32 v4, v4, v9, v11
	v_div_fixup_f32 v1, v4, v13, v1
	v_bfe_u32 v4, v1, 16, 1
	v_add3_u32 v4, v1, v4, s52
	v_and_b32_e32 v4, 0xffff0000, v4
	v_cmp_o_f32_e32 vcc, v1, v1
	v_cndmask_b32_e32 v1, v16, v4, vcc
	v_div_scale_f32 v4, s[4:5], v22, v22, v1
	v_div_scale_f32 v8, vcc, v1, v22, v1
	v_rcp_f32_e32 v9, v4
	v_fma_f32 v11, -v4, v9, 1.0
	v_fmac_f32_e32 v9, v11, v9
	v_mul_f32_e32 v11, v8, v9
	v_fma_f32 v23, -v4, v11, v8
	v_fmac_f32_e32 v11, v23, v9
	v_fma_f32 v4, -v4, v11, v8
	v_div_fmas_f32 v9, v4, v9, v11
	v_mad_u64_u32 v[4:5], s[4:5], v5, s10, v[6:7]
	v_sub_u32_e32 v5, v10, v4
	v_add_u32_e32 v8, 1, v5
	v_cvt_f32_i32_e32 v5, v8
	v_bfe_u32 v6, v5, 16, 1
	v_add3_u32 v5, v5, v6, s52
	v_and_b32_e32 v7, 0xffff0000, v5
	v_div_fixup_f32 v1, v9, v22, v1
	v_bfe_u32 v5, v1, 16, 1
	v_add3_u32 v5, v1, v5, s52
	v_and_b32_e32 v5, 0xffff0000, v5
	v_cmp_o_f32_e32 vcc, v1, v1
	v_cndmask_b32_e32 v1, v16, v5, vcc
	v_div_scale_f32 v5, s[4:5], v7, v7, v1
	v_div_scale_f32 v6, vcc, v1, v7, v1
	v_cmp_lt_i32_e64 s[4:5], 0, v8
	v_rcp_f32_e32 v9, v5
	v_fma_f32 v10, -v5, v9, 1.0
	v_fmac_f32_e32 v9, v10, v9
	v_mul_f32_e32 v10, v6, v9
	v_fma_f32 v11, -v5, v10, v6
	v_fmac_f32_e32 v10, v11, v9
	v_fma_f32 v5, -v5, v10, v6
	v_div_fmas_f32 v11, v5, v9, v10
	v_mov_b32_e32 v5, v2
	v_mov_b32_e32 v6, v4
	v_ashrrev_i64 v[4:5], 31, v[5:6]
	v_add_co_u32_e32 v9, vcc, v18, v4
	v_addc_co_u32_e32 v10, vcc, v19, v5, vcc
	v_div_fixup_f32 v1, v11, v7, v1
	v_bfe_u32 v4, v1, 16, 1
	v_add3_u32 v4, v1, v4, s52
	v_and_b32_e32 v4, 0xffff0000, v4
	v_cmp_o_f32_e32 vcc, v1, v1
	v_cndmask_b32_e32 v11, v16, v4, vcc
	s_branch .LBB7_42
.LBB7_41:                               ;   in Loop: Header=BB7_42 Depth=3
	s_or_b64 exec, exec, s[26:27]
	v_mov_b32_e32 v1, s19
	s_add_i32 s15, s15, 1
	v_add_co_u32_e32 v9, vcc, s18, v9
	s_cmp_lt_i32 s15, s11
	v_addc_co_u32_e32 v10, vcc, v10, v1, vcc
	s_cbranch_scc0 .LBB7_26
.LBB7_42:                               ;   Parent Loop BB7_12 Depth=1
                                        ;     Parent Loop BB7_27 Depth=2
                                        ; =>    This Loop Header: Depth=3
                                        ;         Child Loop BB7_45 Depth 4
                                        ;           Child Loop BB7_47 Depth 5
                                        ;             Child Loop BB7_48 Depth 6
	s_and_saveexec_b64 s[26:27], s[2:3]
	s_cbranch_execz .LBB7_41
; %bb.43:                               ;   in Loop: Header=BB7_42 Depth=3
	s_mov_b32 s21, 0
	s_mov_b64 s[28:29], 0
	s_branch .LBB7_45
.LBB7_44:                               ;   in Loop: Header=BB7_45 Depth=4
	s_or_b64 exec, exec, s[30:31]
	s_add_i32 s21, s21, 1
	v_cmp_ge_i32_e32 vcc, s21, v17
	s_or_b64 s[28:29], vcc, s[28:29]
	s_andn2_b64 exec, exec, s[28:29]
	s_cbranch_execz .LBB7_41
.LBB7_45:                               ;   Parent Loop BB7_12 Depth=1
                                        ;     Parent Loop BB7_27 Depth=2
                                        ;       Parent Loop BB7_42 Depth=3
                                        ; =>      This Loop Header: Depth=4
                                        ;           Child Loop BB7_47 Depth 5
                                        ;             Child Loop BB7_48 Depth 6
	s_and_saveexec_b64 s[30:31], s[4:5]
	s_cbranch_execz .LBB7_44
; %bb.46:                               ;   in Loop: Header=BB7_45 Depth=4
	s_mul_i32 s54, s21, s10
	s_mov_b32 s55, 0
	s_mov_b64 s[34:35], 0
.LBB7_47:                               ;   Parent Loop BB7_12 Depth=1
                                        ;     Parent Loop BB7_27 Depth=2
                                        ;       Parent Loop BB7_42 Depth=3
                                        ;         Parent Loop BB7_45 Depth=4
                                        ; =>        This Loop Header: Depth=5
                                        ;             Child Loop BB7_48 Depth 6
	s_add_i32 s6, s55, s54
	s_ashr_i32 s7, s6, 31
	s_lshl_b64 s[6:7], s[6:7], 1
	v_mov_b32_e32 v1, s7
	v_add_co_u32_e32 v4, vcc, s6, v9
	v_addc_co_u32_e32 v5, vcc, v10, v1, vcc
	v_and_b32_e32 v1, 2, v4
	v_sub_co_u32_e32 v6, vcc, 0, v1
	v_subb_co_u32_e64 v7, s[6:7], 0, 0, vcc
	v_add_co_u32_e32 v4, vcc, v4, v6
	v_addc_co_u32_e32 v5, vcc, v5, v7, vcc
	global_load_dword v7, v[4:5], off
	v_cmp_eq_u64_e64 s[6:7], 0, v[1:2]
	s_mov_b64 s[36:37], 0
.LBB7_48:                               ;   Parent Loop BB7_12 Depth=1
                                        ;     Parent Loop BB7_27 Depth=2
                                        ;       Parent Loop BB7_42 Depth=3
                                        ;         Parent Loop BB7_45 Depth=4
                                        ;           Parent Loop BB7_47 Depth=5
                                        ; =>          This Inner Loop Header: Depth=6
	s_mov_b64 vcc, s[6:7]
	s_waitcnt vmcnt(0)
	v_and_b32_e32 v1, 0xffff, v7
	v_cndmask_b32_sdwa v6, v7, v1, vcc dst_sel:WORD_1 dst_unused:UNUSED_PAD src0_sel:WORD_1 src1_sel:DWORD
	v_add_f32_e32 v6, v11, v6
	v_bfe_u32 v23, v6, 16, 1
	v_cmp_o_f32_e32 vcc, v6, v6
	v_add3_u32 v6, v6, v23, s52
	v_mov_b32_e32 v23, 0x7fc0
	v_cndmask_b32_sdwa v6, v23, v6, vcc dst_sel:DWORD dst_unused:UNUSED_PAD src0_sel:DWORD src1_sel:WORD_1
	v_lshl_or_b32 v1, v6, 16, v1
	v_and_or_b32 v6, v7, s53, v6
	v_cndmask_b32_e64 v6, v1, v6, s[6:7]
	global_atomic_cmpswap v1, v[4:5], v[6:7], off glc
	s_waitcnt vmcnt(0)
	v_cmp_eq_u32_e32 vcc, v7, v1
	s_or_b64 s[36:37], vcc, s[36:37]
	v_mov_b32_e32 v7, v1
	s_andn2_b64 exec, exec, s[36:37]
	s_cbranch_execnz .LBB7_48
; %bb.49:                               ;   in Loop: Header=BB7_47 Depth=5
	s_or_b64 exec, exec, s[36:37]
	s_add_i32 s55, s55, 1
	v_cmp_ge_i32_e32 vcc, s55, v8
	s_or_b64 s[34:35], vcc, s[34:35]
	s_andn2_b64 exec, exec, s[34:35]
	s_cbranch_execnz .LBB7_47
	s_branch .LBB7_44
.LBB7_50:
	s_endpgm
.LBB7_51:
                                        ; implicit-def: $sgpr14_sgpr15
	s_branch .LBB7_2
.LBB7_52:
                                        ; implicit-def: $sgpr16_sgpr17
	s_branch .LBB7_5
.LBB7_53:
                                        ; implicit-def: $sgpr22_sgpr23
	s_load_dword s3, s[4:5], 0x3c
	s_andn2_b64 vcc, exec, s[20:21]
	s_cbranch_vccz .LBB7_8
	s_branch .LBB7_9
	.section	.rodata,"a",@progbits
	.p2align	6, 0x0
	.amdhsa_kernel _ZN2at6native12_GLOBAL__N_130atomicadaptiveaveragegradinputIN3c108BFloat16EEEvPT_PKS5_iiiiiil
		.amdhsa_group_segment_fixed_size 0
		.amdhsa_private_segment_fixed_size 0
		.amdhsa_kernarg_size 304
		.amdhsa_user_sgpr_count 6
		.amdhsa_user_sgpr_private_segment_buffer 1
		.amdhsa_user_sgpr_dispatch_ptr 0
		.amdhsa_user_sgpr_queue_ptr 0
		.amdhsa_user_sgpr_kernarg_segment_ptr 1
		.amdhsa_user_sgpr_dispatch_id 0
		.amdhsa_user_sgpr_flat_scratch_init 0
		.amdhsa_user_sgpr_private_segment_size 0
		.amdhsa_uses_dynamic_stack 0
		.amdhsa_system_sgpr_private_segment_wavefront_offset 0
		.amdhsa_system_sgpr_workgroup_id_x 1
		.amdhsa_system_sgpr_workgroup_id_y 1
		.amdhsa_system_sgpr_workgroup_id_z 0
		.amdhsa_system_sgpr_workgroup_info 0
		.amdhsa_system_vgpr_workitem_id 1
		.amdhsa_next_free_vgpr 27
		.amdhsa_next_free_sgpr 56
		.amdhsa_reserve_vcc 1
		.amdhsa_reserve_flat_scratch 0
		.amdhsa_float_round_mode_32 0
		.amdhsa_float_round_mode_16_64 0
		.amdhsa_float_denorm_mode_32 3
		.amdhsa_float_denorm_mode_16_64 3
		.amdhsa_dx10_clamp 1
		.amdhsa_ieee_mode 1
		.amdhsa_fp16_overflow 0
		.amdhsa_exception_fp_ieee_invalid_op 0
		.amdhsa_exception_fp_denorm_src 0
		.amdhsa_exception_fp_ieee_div_zero 0
		.amdhsa_exception_fp_ieee_overflow 0
		.amdhsa_exception_fp_ieee_underflow 0
		.amdhsa_exception_fp_ieee_inexact 0
		.amdhsa_exception_int_div_zero 0
	.end_amdhsa_kernel
	.section	.text._ZN2at6native12_GLOBAL__N_130atomicadaptiveaveragegradinputIN3c108BFloat16EEEvPT_PKS5_iiiiiil,"axG",@progbits,_ZN2at6native12_GLOBAL__N_130atomicadaptiveaveragegradinputIN3c108BFloat16EEEvPT_PKS5_iiiiiil,comdat
.Lfunc_end7:
	.size	_ZN2at6native12_GLOBAL__N_130atomicadaptiveaveragegradinputIN3c108BFloat16EEEvPT_PKS5_iiiiiil, .Lfunc_end7-_ZN2at6native12_GLOBAL__N_130atomicadaptiveaveragegradinputIN3c108BFloat16EEEvPT_PKS5_iiiiiil
                                        ; -- End function
	.set _ZN2at6native12_GLOBAL__N_130atomicadaptiveaveragegradinputIN3c108BFloat16EEEvPT_PKS5_iiiiiil.num_vgpr, 27
	.set _ZN2at6native12_GLOBAL__N_130atomicadaptiveaveragegradinputIN3c108BFloat16EEEvPT_PKS5_iiiiiil.num_agpr, 0
	.set _ZN2at6native12_GLOBAL__N_130atomicadaptiveaveragegradinputIN3c108BFloat16EEEvPT_PKS5_iiiiiil.numbered_sgpr, 56
	.set _ZN2at6native12_GLOBAL__N_130atomicadaptiveaveragegradinputIN3c108BFloat16EEEvPT_PKS5_iiiiiil.num_named_barrier, 0
	.set _ZN2at6native12_GLOBAL__N_130atomicadaptiveaveragegradinputIN3c108BFloat16EEEvPT_PKS5_iiiiiil.private_seg_size, 0
	.set _ZN2at6native12_GLOBAL__N_130atomicadaptiveaveragegradinputIN3c108BFloat16EEEvPT_PKS5_iiiiiil.uses_vcc, 1
	.set _ZN2at6native12_GLOBAL__N_130atomicadaptiveaveragegradinputIN3c108BFloat16EEEvPT_PKS5_iiiiiil.uses_flat_scratch, 0
	.set _ZN2at6native12_GLOBAL__N_130atomicadaptiveaveragegradinputIN3c108BFloat16EEEvPT_PKS5_iiiiiil.has_dyn_sized_stack, 0
	.set _ZN2at6native12_GLOBAL__N_130atomicadaptiveaveragegradinputIN3c108BFloat16EEEvPT_PKS5_iiiiiil.has_recursion, 0
	.set _ZN2at6native12_GLOBAL__N_130atomicadaptiveaveragegradinputIN3c108BFloat16EEEvPT_PKS5_iiiiiil.has_indirect_call, 0
	.section	.AMDGPU.csdata,"",@progbits
; Kernel info:
; codeLenInByte = 7412
; TotalNumSgprs: 60
; NumVgprs: 27
; ScratchSize: 0
; MemoryBound: 0
; FloatMode: 240
; IeeeMode: 1
; LDSByteSize: 0 bytes/workgroup (compile time only)
; SGPRBlocks: 7
; VGPRBlocks: 6
; NumSGPRsForWavesPerEU: 60
; NumVGPRsForWavesPerEU: 27
; Occupancy: 9
; WaveLimiterHint : 0
; COMPUTE_PGM_RSRC2:SCRATCH_EN: 0
; COMPUTE_PGM_RSRC2:USER_SGPR: 6
; COMPUTE_PGM_RSRC2:TRAP_HANDLER: 0
; COMPUTE_PGM_RSRC2:TGID_X_EN: 1
; COMPUTE_PGM_RSRC2:TGID_Y_EN: 1
; COMPUTE_PGM_RSRC2:TGID_Z_EN: 0
; COMPUTE_PGM_RSRC2:TIDIG_COMP_CNT: 1
	.section	.text._ZN2at6native12_GLOBAL__N_124adaptiveaveragegradinputIddEEvPT_PKS3_iiiiiil,"axG",@progbits,_ZN2at6native12_GLOBAL__N_124adaptiveaveragegradinputIddEEvPT_PKS3_iiiiiil,comdat
	.globl	_ZN2at6native12_GLOBAL__N_124adaptiveaveragegradinputIddEEvPT_PKS3_iiiiiil ; -- Begin function _ZN2at6native12_GLOBAL__N_124adaptiveaveragegradinputIddEEvPT_PKS3_iiiiiil
	.p2align	8
	.type	_ZN2at6native12_GLOBAL__N_124adaptiveaveragegradinputIddEEvPT_PKS3_iiiiiil,@function
_ZN2at6native12_GLOBAL__N_124adaptiveaveragegradinputIddEEvPT_PKS3_iiiiiil: ; @_ZN2at6native12_GLOBAL__N_124adaptiveaveragegradinputIddEEvPT_PKS3_iiiiiil
; %bb.0:
	s_load_dwordx8 s[8:15], s[4:5], 0x10
	s_mov_b32 s0, 0
	s_waitcnt lgkmcnt(0)
	s_add_u32 s18, s14, s6
	s_addc_u32 s19, s15, 0
	s_ashr_i32 s15, s8, 31
	s_mov_b32 s14, s8
	s_or_b64 s[2:3], s[18:19], s[14:15]
	s_mov_b32 s1, s3
	s_cmp_lg_u64 s[0:1], 0
	s_cbranch_scc0 .LBB8_86
; %bb.1:
	s_ashr_i32 s2, s15, 31
	s_add_u32 s0, s14, s2
	s_mov_b32 s3, s2
	s_addc_u32 s1, s15, s2
	s_xor_b64 s[16:17], s[0:1], s[2:3]
	v_cvt_f32_u32_e32 v2, s16
	v_cvt_f32_u32_e32 v3, s17
	s_sub_u32 s6, 0, s16
	s_subb_u32 s8, 0, s17
	v_madmk_f32 v2, v3, 0x4f800000, v2
	v_rcp_f32_e32 v2, v2
	v_mul_f32_e32 v2, 0x5f7ffffc, v2
	v_mul_f32_e32 v3, 0x2f800000, v2
	v_trunc_f32_e32 v3, v3
	v_madmk_f32 v2, v3, 0xcf800000, v2
	v_cvt_u32_f32_e32 v3, v3
	v_cvt_u32_f32_e32 v2, v2
	v_readfirstlane_b32 s22, v3
	v_readfirstlane_b32 s20, v2
	s_mul_i32 s21, s6, s22
	s_mul_hi_u32 s24, s6, s20
	s_mul_i32 s23, s8, s20
	s_add_i32 s21, s24, s21
	s_add_i32 s21, s21, s23
	s_mul_i32 s25, s6, s20
	s_mul_i32 s24, s20, s21
	s_mul_hi_u32 s26, s20, s25
	s_mul_hi_u32 s23, s20, s21
	s_add_u32 s24, s26, s24
	s_addc_u32 s23, 0, s23
	s_mul_hi_u32 s27, s22, s25
	s_mul_i32 s25, s22, s25
	s_add_u32 s24, s24, s25
	s_mul_hi_u32 s26, s22, s21
	s_addc_u32 s23, s23, s27
	s_addc_u32 s24, s26, 0
	s_mul_i32 s21, s22, s21
	s_add_u32 s21, s23, s21
	s_addc_u32 s23, 0, s24
	s_add_u32 s24, s20, s21
	s_cselect_b64 s[20:21], -1, 0
	s_cmp_lg_u64 s[20:21], 0
	s_addc_u32 s22, s22, s23
	s_mul_i32 s20, s6, s22
	s_mul_hi_u32 s21, s6, s24
	s_add_i32 s20, s21, s20
	s_mul_i32 s8, s8, s24
	s_add_i32 s20, s20, s8
	s_mul_i32 s6, s6, s24
	s_mul_hi_u32 s21, s22, s6
	s_mul_i32 s23, s22, s6
	s_mul_i32 s26, s24, s20
	s_mul_hi_u32 s6, s24, s6
	s_mul_hi_u32 s25, s24, s20
	s_add_u32 s6, s6, s26
	s_addc_u32 s25, 0, s25
	s_add_u32 s6, s6, s23
	s_mul_hi_u32 s8, s22, s20
	s_addc_u32 s6, s25, s21
	s_addc_u32 s8, s8, 0
	s_mul_i32 s20, s22, s20
	s_add_u32 s6, s6, s20
	s_addc_u32 s8, 0, s8
	s_add_u32 s6, s24, s6
	s_cselect_b64 s[20:21], -1, 0
	s_cmp_lg_u64 s[20:21], 0
	s_addc_u32 s8, s22, s8
	s_ashr_i32 s20, s19, 31
	s_add_u32 s22, s18, s20
	s_mov_b32 s21, s20
	s_addc_u32 s23, s19, s20
	s_xor_b64 s[22:23], s[22:23], s[20:21]
	s_mul_i32 s25, s22, s8
	s_mul_hi_u32 s26, s22, s6
	s_mul_hi_u32 s24, s22, s8
	s_add_u32 s25, s26, s25
	s_addc_u32 s24, 0, s24
	s_mul_hi_u32 s27, s23, s6
	s_mul_i32 s6, s23, s6
	s_add_u32 s6, s25, s6
	s_mul_hi_u32 s26, s23, s8
	s_addc_u32 s6, s24, s27
	s_addc_u32 s24, s26, 0
	s_mul_i32 s8, s23, s8
	s_add_u32 s6, s6, s8
	s_addc_u32 s8, 0, s24
	s_mul_i32 s24, s16, s8
	s_mul_hi_u32 s25, s16, s6
	s_add_i32 s24, s25, s24
	s_mul_i32 s25, s17, s6
	s_add_i32 s28, s24, s25
	s_sub_i32 s26, s23, s28
	s_mul_i32 s24, s16, s6
	s_sub_u32 s22, s22, s24
	s_cselect_b64 s[24:25], -1, 0
	s_cmp_lg_u64 s[24:25], 0
	s_subb_u32 s29, s26, s17
	s_sub_u32 s30, s22, s16
	s_cselect_b64 s[26:27], -1, 0
	s_cmp_lg_u64 s[26:27], 0
	s_subb_u32 s26, s29, 0
	s_cmp_ge_u32 s26, s17
	s_cselect_b32 s27, -1, 0
	s_cmp_ge_u32 s30, s16
	s_cselect_b32 s29, -1, 0
	s_cmp_eq_u32 s26, s17
	s_cselect_b32 s26, s29, s27
	s_add_u32 s27, s6, 1
	s_addc_u32 s29, s8, 0
	s_add_u32 s30, s6, 2
	s_addc_u32 s31, s8, 0
	s_cmp_lg_u32 s26, 0
	s_cselect_b32 s26, s30, s27
	s_cselect_b32 s27, s31, s29
	s_cmp_lg_u64 s[24:25], 0
	s_subb_u32 s23, s23, s28
	s_cmp_ge_u32 s23, s17
	s_cselect_b32 s24, -1, 0
	s_cmp_ge_u32 s22, s16
	s_cselect_b32 s16, -1, 0
	s_cmp_eq_u32 s23, s17
	s_cselect_b32 s16, s16, s24
	s_cmp_lg_u32 s16, 0
	s_cselect_b32 s17, s27, s8
	s_cselect_b32 s16, s26, s6
	s_xor_b64 s[2:3], s[20:21], s[2:3]
	s_xor_b64 s[16:17], s[16:17], s[2:3]
	s_sub_u32 s20, s16, s2
	s_subb_u32 s21, s17, s3
	v_cvt_f32_u32_e32 v2, s14
	s_cbranch_execnz .LBB8_3
.LBB8_2:
	v_rcp_iflag_f32_e32 v3, v2
	s_sub_i32 s0, 0, s14
	s_mov_b32 s21, 0
	v_mul_f32_e32 v3, 0x4f7ffffe, v3
	v_cvt_u32_f32_e32 v3, v3
	v_readfirstlane_b32 s1, v3
	s_mul_i32 s0, s0, s1
	s_mul_hi_u32 s0, s1, s0
	s_add_i32 s1, s1, s0
	s_mul_hi_u32 s0, s18, s1
	s_mul_i32 s2, s0, s14
	s_sub_i32 s2, s18, s2
	s_add_i32 s1, s0, 1
	s_sub_i32 s3, s2, s14
	s_cmp_ge_u32 s2, s14
	s_cselect_b32 s0, s1, s0
	s_cselect_b32 s2, s3, s2
	s_add_i32 s1, s0, 1
	s_cmp_ge_u32 s2, s14
	s_cselect_b32 s20, s1, s0
.LBB8_3:
	s_mul_i32 s0, s20, s15
	s_mul_hi_u32 s1, s20, s14
	s_add_i32 s0, s1, s0
	s_mul_i32 s1, s21, s14
	s_add_i32 s0, s0, s1
	s_mul_i32 s1, s20, s14
	s_sub_u32 s8, s18, s1
	s_subb_u32 s21, s19, s0
	s_abs_i32 s1, s14
	v_cvt_f32_u32_e32 v3, s1
	s_sub_i32 s6, 0, s1
	s_abs_i32 s3, s8
	s_xor_b32 s0, s8, s14
	v_rcp_iflag_f32_e32 v3, v3
	s_ashr_i32 s17, s11, 31
	s_ashr_i32 s2, s0, 31
	s_mov_b32 s0, 0
	v_mul_f32_e32 v3, 0x4f7ffffe, v3
	v_cvt_u32_f32_e32 v3, v3
	v_readfirstlane_b32 s16, v3
	s_mul_i32 s6, s6, s16
	s_mul_hi_u32 s6, s16, s6
	s_add_i32 s16, s16, s6
	s_mul_hi_u32 s6, s3, s16
	s_mul_i32 s16, s6, s1
	s_sub_i32 s3, s3, s16
	s_add_i32 s16, s6, 1
	s_sub_i32 s22, s3, s1
	s_cmp_ge_u32 s3, s1
	s_cselect_b32 s6, s16, s6
	s_cselect_b32 s3, s22, s3
	s_add_i32 s16, s6, 1
	s_cmp_ge_u32 s3, s1
	s_cselect_b32 s1, s16, s6
	s_xor_b32 s1, s1, s2
	s_sub_i32 s6, s1, s2
	s_mul_i32 s1, s6, s14
	s_sub_i32 s1, s8, s1
	s_mul_hi_i32 s3, s1, s11
	s_mul_i32 s2, s1, s11
	s_or_b64 s[22:23], s[2:3], s[14:15]
	s_mov_b32 s1, s23
	s_cmp_lg_u64 s[0:1], 0
	s_mov_b32 s16, s11
	s_cbranch_scc0 .LBB8_87
; %bb.4:
	s_ashr_i32 s0, s15, 31
	s_add_u32 s22, s14, s0
	s_mov_b32 s1, s0
	s_addc_u32 s23, s15, s0
	s_xor_b64 s[24:25], s[22:23], s[0:1]
	v_cvt_f32_u32_e32 v3, s24
	v_cvt_f32_u32_e32 v4, s25
	s_sub_u32 s28, 0, s24
	s_subb_u32 s29, 0, s25
	v_madmk_f32 v3, v4, 0x4f800000, v3
	v_rcp_f32_e32 v3, v3
	v_mul_f32_e32 v3, 0x5f7ffffc, v3
	v_mul_f32_e32 v4, 0x2f800000, v3
	v_trunc_f32_e32 v4, v4
	v_madmk_f32 v3, v4, 0xcf800000, v3
	v_cvt_u32_f32_e32 v4, v4
	v_cvt_u32_f32_e32 v3, v3
	v_readfirstlane_b32 s30, v4
	v_readfirstlane_b32 s26, v3
	s_mul_i32 s27, s28, s30
	s_mul_hi_u32 s33, s28, s26
	s_mul_i32 s31, s29, s26
	s_add_i32 s27, s33, s27
	s_add_i32 s27, s27, s31
	s_mul_i32 s34, s28, s26
	s_mul_i32 s33, s26, s27
	s_mul_hi_u32 s35, s26, s34
	s_mul_hi_u32 s31, s26, s27
	s_add_u32 s33, s35, s33
	s_addc_u32 s31, 0, s31
	s_mul_hi_u32 s36, s30, s34
	s_mul_i32 s34, s30, s34
	s_add_u32 s33, s33, s34
	s_mul_hi_u32 s35, s30, s27
	s_addc_u32 s31, s31, s36
	s_addc_u32 s33, s35, 0
	s_mul_i32 s27, s30, s27
	s_add_u32 s27, s31, s27
	s_addc_u32 s31, 0, s33
	s_add_u32 s33, s26, s27
	s_cselect_b64 s[26:27], -1, 0
	s_cmp_lg_u64 s[26:27], 0
	s_addc_u32 s30, s30, s31
	s_mul_i32 s26, s28, s30
	s_mul_hi_u32 s27, s28, s33
	s_add_i32 s26, s27, s26
	s_mul_i32 s29, s29, s33
	s_add_i32 s26, s26, s29
	s_mul_i32 s28, s28, s33
	s_mul_hi_u32 s29, s30, s28
	s_mul_i32 s31, s30, s28
	s_mul_i32 s35, s33, s26
	s_mul_hi_u32 s28, s33, s28
	s_mul_hi_u32 s34, s33, s26
	s_add_u32 s28, s28, s35
	s_addc_u32 s34, 0, s34
	s_add_u32 s28, s28, s31
	s_mul_hi_u32 s27, s30, s26
	s_addc_u32 s28, s34, s29
	s_addc_u32 s27, s27, 0
	s_mul_i32 s26, s30, s26
	s_add_u32 s26, s28, s26
	s_addc_u32 s28, 0, s27
	s_add_u32 s31, s33, s26
	s_cselect_b64 s[26:27], -1, 0
	s_cmp_lg_u64 s[26:27], 0
	s_addc_u32 s30, s30, s28
	s_ashr_i32 s26, s3, 31
	s_add_u32 s28, s2, s26
	s_mov_b32 s27, s26
	s_addc_u32 s29, s3, s26
	s_xor_b64 s[28:29], s[28:29], s[26:27]
	s_mul_i32 s33, s28, s30
	s_mul_hi_u32 s34, s28, s31
	s_mul_hi_u32 s3, s28, s30
	s_add_u32 s33, s34, s33
	s_addc_u32 s3, 0, s3
	s_mul_hi_u32 s35, s29, s31
	s_mul_i32 s31, s29, s31
	s_add_u32 s31, s33, s31
	s_mul_hi_u32 s34, s29, s30
	s_addc_u32 s3, s3, s35
	s_addc_u32 s31, s34, 0
	s_mul_i32 s30, s29, s30
	s_add_u32 s3, s3, s30
	s_addc_u32 s33, 0, s31
	s_mul_i32 s30, s24, s33
	s_mul_hi_u32 s31, s24, s3
	s_add_i32 s30, s31, s30
	s_mul_i32 s31, s25, s3
	s_add_i32 s36, s30, s31
	s_sub_i32 s34, s29, s36
	s_mul_i32 s30, s24, s3
	s_sub_u32 s28, s28, s30
	s_cselect_b64 s[30:31], -1, 0
	s_cmp_lg_u64 s[30:31], 0
	s_subb_u32 s37, s34, s25
	s_sub_u32 s38, s28, s24
	s_cselect_b64 s[34:35], -1, 0
	s_cmp_lg_u64 s[34:35], 0
	s_subb_u32 s34, s37, 0
	s_cmp_ge_u32 s34, s25
	s_cselect_b32 s35, -1, 0
	s_cmp_ge_u32 s38, s24
	s_cselect_b32 s37, -1, 0
	s_cmp_eq_u32 s34, s25
	s_cselect_b32 s34, s37, s35
	s_add_u32 s35, s3, 1
	s_addc_u32 s37, s33, 0
	s_add_u32 s38, s3, 2
	s_addc_u32 s39, s33, 0
	s_cmp_lg_u32 s34, 0
	s_cselect_b32 s34, s38, s35
	s_cselect_b32 s35, s39, s37
	s_cmp_lg_u64 s[30:31], 0
	s_subb_u32 s29, s29, s36
	s_cmp_ge_u32 s29, s25
	s_cselect_b32 s30, -1, 0
	s_cmp_ge_u32 s28, s24
	s_cselect_b32 s24, -1, 0
	s_cmp_eq_u32 s29, s25
	s_cselect_b32 s24, s24, s30
	s_cmp_lg_u32 s24, 0
	s_cselect_b32 s25, s35, s33
	s_cselect_b32 s24, s34, s3
	s_xor_b64 s[0:1], s[26:27], s[0:1]
	s_xor_b64 s[24:25], s[24:25], s[0:1]
	s_sub_u32 s0, s24, s0
	s_cbranch_execnz .LBB8_6
.LBB8_5:
	v_rcp_iflag_f32_e32 v3, v2
	s_sub_i32 s0, 0, s14
	v_mul_f32_e32 v3, 0x4f7ffffe, v3
	v_cvt_u32_f32_e32 v3, v3
	v_readfirstlane_b32 s1, v3
	s_mul_i32 s0, s0, s1
	s_mul_hi_u32 s0, s1, s0
	s_add_i32 s1, s1, s0
	s_mul_hi_u32 s0, s2, s1
	s_mul_i32 s3, s0, s14
	s_sub_i32 s2, s2, s3
	s_add_i32 s1, s0, 1
	s_sub_i32 s3, s2, s14
	s_cmp_ge_u32 s2, s14
	s_cselect_b32 s0, s1, s0
	s_cselect_b32 s2, s3, s2
	s_add_i32 s1, s0, 1
	s_cmp_ge_u32 s2, s14
	s_cselect_b32 s0, s1, s0
.LBB8_6:
	s_add_u32 s1, s8, 1
	s_addc_u32 s2, s21, 0
	s_mul_i32 s3, s1, s17
	s_mul_hi_u32 s8, s1, s16
	s_add_i32 s3, s8, s3
	s_mul_i32 s2, s2, s16
	s_add_i32 s3, s3, s2
	s_mul_i32 s1, s1, s16
	s_add_u32 s2, s1, -1
	s_addc_u32 s3, s3, -1
	s_or_b64 s[22:23], s[2:3], s[14:15]
	s_mov_b32 s22, 0
	s_cmp_lg_u64 s[22:23], 0
	s_mov_b64 s[22:23], -1
	s_cbranch_scc0 .LBB8_88
; %bb.7:
	s_ashr_i32 s24, s15, 31
	s_add_u32 s22, s14, s24
	s_mov_b32 s25, s24
	s_addc_u32 s23, s15, s24
	s_xor_b64 s[26:27], s[22:23], s[24:25]
	v_cvt_f32_u32_e32 v3, s26
	v_cvt_f32_u32_e32 v4, s27
	s_sub_u32 s1, 0, s26
	s_subb_u32 s8, 0, s27
	v_madmk_f32 v3, v4, 0x4f800000, v3
	v_rcp_f32_e32 v3, v3
	v_mul_f32_e32 v3, 0x5f7ffffc, v3
	v_mul_f32_e32 v4, 0x2f800000, v3
	v_trunc_f32_e32 v4, v4
	v_madmk_f32 v3, v4, 0xcf800000, v3
	v_cvt_u32_f32_e32 v4, v4
	v_cvt_u32_f32_e32 v3, v3
	v_readfirstlane_b32 s21, v4
	v_readfirstlane_b32 s28, v3
	s_mul_i32 s29, s1, s21
	s_mul_hi_u32 s31, s1, s28
	s_mul_i32 s30, s8, s28
	s_add_i32 s29, s31, s29
	s_add_i32 s29, s29, s30
	s_mul_i32 s33, s1, s28
	s_mul_i32 s31, s28, s29
	s_mul_hi_u32 s34, s28, s33
	s_mul_hi_u32 s30, s28, s29
	s_add_u32 s31, s34, s31
	s_addc_u32 s30, 0, s30
	s_mul_hi_u32 s35, s21, s33
	s_mul_i32 s33, s21, s33
	s_add_u32 s31, s31, s33
	s_mul_hi_u32 s34, s21, s29
	s_addc_u32 s30, s30, s35
	s_addc_u32 s31, s34, 0
	s_mul_i32 s29, s21, s29
	s_add_u32 s29, s30, s29
	s_addc_u32 s30, 0, s31
	s_add_u32 s31, s28, s29
	s_cselect_b64 s[28:29], -1, 0
	s_cmp_lg_u64 s[28:29], 0
	s_addc_u32 s21, s21, s30
	s_mul_i32 s28, s1, s21
	s_mul_hi_u32 s29, s1, s31
	s_add_i32 s28, s29, s28
	s_mul_i32 s8, s8, s31
	s_add_i32 s28, s28, s8
	s_mul_i32 s1, s1, s31
	s_mul_hi_u32 s29, s21, s1
	s_mul_i32 s30, s21, s1
	s_mul_i32 s34, s31, s28
	s_mul_hi_u32 s1, s31, s1
	s_mul_hi_u32 s33, s31, s28
	s_add_u32 s1, s1, s34
	s_addc_u32 s33, 0, s33
	s_add_u32 s1, s1, s30
	s_mul_hi_u32 s8, s21, s28
	s_addc_u32 s1, s33, s29
	s_addc_u32 s8, s8, 0
	s_mul_i32 s28, s21, s28
	s_add_u32 s1, s1, s28
	s_addc_u32 s8, 0, s8
	s_add_u32 s1, s31, s1
	s_cselect_b64 s[28:29], -1, 0
	s_cmp_lg_u64 s[28:29], 0
	s_addc_u32 s8, s21, s8
	s_ashr_i32 s28, s3, 31
	s_add_u32 s30, s2, s28
	s_mov_b32 s29, s28
	s_addc_u32 s31, s3, s28
	s_xor_b64 s[30:31], s[30:31], s[28:29]
	s_mul_i32 s21, s30, s8
	s_mul_hi_u32 s33, s30, s1
	s_mul_hi_u32 s3, s30, s8
	s_add_u32 s21, s33, s21
	s_addc_u32 s3, 0, s3
	s_mul_hi_u32 s34, s31, s1
	s_mul_i32 s1, s31, s1
	s_add_u32 s1, s21, s1
	s_mul_hi_u32 s33, s31, s8
	s_addc_u32 s1, s3, s34
	s_addc_u32 s3, s33, 0
	s_mul_i32 s8, s31, s8
	s_add_u32 s1, s1, s8
	s_addc_u32 s3, 0, s3
	s_mul_i32 s8, s26, s3
	s_mul_hi_u32 s21, s26, s1
	s_add_i32 s8, s21, s8
	s_mul_i32 s21, s27, s1
	s_add_i32 s8, s8, s21
	s_sub_i32 s21, s31, s8
	s_mul_i32 s33, s26, s1
	s_sub_u32 s30, s30, s33
	s_cselect_b64 s[34:35], -1, 0
	s_cmp_lg_u64 s[34:35], 0
	s_subb_u32 s21, s21, s27
	s_sub_u32 s33, s30, s26
	s_cselect_b64 s[36:37], -1, 0
	s_cmp_lg_u64 s[36:37], 0
	s_subb_u32 s21, s21, 0
	s_cmp_ge_u32 s21, s27
	s_cselect_b32 s36, -1, 0
	s_cmp_ge_u32 s33, s26
	s_cselect_b32 s33, -1, 0
	s_cmp_eq_u32 s21, s27
	s_cselect_b32 s21, s33, s36
	s_add_u32 s33, s1, 1
	s_addc_u32 s36, s3, 0
	s_add_u32 s37, s1, 2
	s_addc_u32 s38, s3, 0
	s_cmp_lg_u32 s21, 0
	s_cselect_b32 s21, s37, s33
	s_cselect_b32 s33, s38, s36
	s_cmp_lg_u64 s[34:35], 0
	s_subb_u32 s8, s31, s8
	s_cmp_ge_u32 s8, s27
	s_cselect_b32 s31, -1, 0
	s_cmp_ge_u32 s30, s26
	s_cselect_b32 s26, -1, 0
	s_cmp_eq_u32 s8, s27
	s_cselect_b32 s8, s26, s31
	s_cmp_lg_u32 s8, 0
	s_cselect_b32 s27, s33, s3
	s_cselect_b32 s26, s21, s1
	s_xor_b64 s[24:25], s[28:29], s[24:25]
	s_xor_b64 s[26:27], s[26:27], s[24:25]
	s_sub_u32 s24, s26, s24
	s_load_dword s21, s[4:5], 0x3c
	s_cbranch_execnz .LBB8_9
.LBB8_8:
	v_rcp_iflag_f32_e32 v2, v2
	s_sub_i32 s1, 0, s14
	v_mul_f32_e32 v2, 0x4f7ffffe, v2
	v_cvt_u32_f32_e32 v2, v2
	v_readfirstlane_b32 s3, v2
	s_mul_i32 s1, s1, s3
	s_mul_hi_u32 s1, s3, s1
	s_add_i32 s3, s3, s1
	s_mul_hi_u32 s1, s2, s3
	s_mul_i32 s8, s1, s14
	s_sub_i32 s2, s2, s8
	s_add_i32 s3, s1, 1
	s_sub_i32 s8, s2, s14
	s_cmp_ge_u32 s2, s14
	s_cselect_b32 s1, s3, s1
	s_cselect_b32 s2, s8, s2
	s_add_i32 s3, s1, 1
	s_cmp_ge_u32 s2, s14
	s_cselect_b32 s24, s3, s1
.LBB8_9:
	s_waitcnt lgkmcnt(0)
	s_lshr_b32 s22, s21, 16
	s_mul_i32 s7, s7, s22
	v_add_u32_e32 v29, s7, v1
	v_cmp_gt_i32_e32 vcc, s9, v29
	s_and_saveexec_b64 s[2:3], vcc
	s_cbranch_execz .LBB8_85
; %bb.10:
	s_mul_i32 s6, s6, s16
	s_add_i32 s8, s0, s6
	s_load_dword s64, s[4:5], 0x34
	s_load_dwordx4 s[0:3], s[4:5], 0x0
	s_mul_i32 s6, s10, s9
	s_mul_hi_i32 s4, s10, s9
	s_mul_i32 s5, s6, s19
	s_mul_hi_u32 s7, s6, s18
	s_add_i32 s5, s7, s5
	s_mul_i32 s4, s4, s18
	s_add_i32 s5, s5, s4
	s_mul_i32 s4, s6, s18
	s_add_i32 s33, s24, 1
	s_ashr_i32 s54, s9, 31
	s_ashr_i32 s56, s10, 31
	s_lshl_b64 s[4:5], s[4:5], 3
	s_waitcnt lgkmcnt(0)
	s_add_u32 s58, s0, s4
	s_mul_i32 s0, s11, s20
	s_addc_u32 s59, s1, s5
	s_add_i32 s0, s0, s8
	s_mul_i32 s4, s13, s12
	s_and_b32 s11, s21, 0xffff
	s_ashr_i32 s60, s12, 31
	s_ashr_i32 s61, s13, 31
	s_mul_i32 s0, s4, s0
	s_cmp_gt_i32 s33, s8
	s_cselect_b64 s[18:19], -1, 0
	s_ashr_i32 s1, s0, 31
	s_ashr_i32 s5, s4, 31
	s_lshl_b64 s[0:1], s[0:1], 3
	s_add_u32 s20, s2, s0
	s_addc_u32 s21, s3, s1
	s_ashr_i32 s62, s9, 31
	s_add_i32 s0, s9, s62
	s_xor_b32 s63, s0, s62
	s_mov_b32 s55, s9
	v_cvt_f32_u32_e32 v1, s63
	v_cvt_f32_u32_e32 v2, s55
	s_sub_i32 s2, 0, s63
	s_mov_b32 s57, s10
	v_rcp_iflag_f32_e32 v1, v1
	v_rcp_iflag_f32_e32 v2, v2
	s_mul_i32 s64, s64, s22
	s_mov_b32 s65, s12
	v_mul_f32_e32 v1, 0x4f7ffffe, v1
	v_cvt_u32_f32_e32 v3, v1
	v_mul_f32_e32 v1, 0x4f7ffffe, v2
	v_cvt_u32_f32_e32 v2, v1
	v_cmp_gt_i32_e64 s[0:1], s10, v0
	v_mul_lo_u32 v1, s2, v3
	s_sub_i32 s2, 0, s9
	v_mul_lo_u32 v4, s2, v2
	s_mov_b32 s66, s13
	v_mul_hi_u32 v5, v3, v1
	s_lshl_b64 s[22:23], s[4:5], 3
	v_mul_hi_u32 v4, v2, v4
	s_mov_b64 s[24:25], 0
	v_mov_b32_e32 v1, 0
	s_mov_b32 s26, 0
	v_add_u32_e32 v30, v3, v5
	v_add_u32_e32 v31, v2, v4
	s_ashr_i32 s28, s54, 31
	s_branch .LBB8_12
.LBB8_11:                               ;   in Loop: Header=BB8_12 Depth=1
	s_or_b64 exec, exec, s[30:31]
	v_add_u32_e32 v29, s64, v29
	v_cmp_le_i32_e32 vcc, s9, v29
	s_or_b64 s[24:25], vcc, s[24:25]
	s_andn2_b64 exec, exec, s[24:25]
	s_cbranch_execz .LBB8_85
.LBB8_12:                               ; =>This Loop Header: Depth=1
                                        ;     Child Loop BB8_27 Depth 2
                                        ;       Child Loop BB8_42 Depth 3
                                        ;         Child Loop BB8_56 Depth 4
                                        ;           Child Loop BB8_71 Depth 5
	v_ashrrev_i32_e32 v8, 31, v29
	v_or_b32_e32 v2, s54, v8
	v_cmp_ne_u64_e32 vcc, 0, v[1:2]
                                        ; implicit-def: $vgpr5_vgpr6
	s_and_saveexec_b64 s[2:3], vcc
	s_xor_b64 s[2:3], exec, s[2:3]
	s_cbranch_execz .LBB8_14
; %bb.13:                               ;   in Loop: Header=BB8_12 Depth=1
	v_ashrrev_i32_e32 v2, 31, v29
	v_add_u32_e32 v3, v29, v2
	v_xor_b32_e32 v3, v3, v2
	v_mul_hi_u32 v4, v3, v30
	v_xor_b32_e32 v2, s62, v2
	v_mul_lo_u32 v5, v4, s63
	v_add_u32_e32 v6, 1, v4
	v_sub_u32_e32 v3, v3, v5
	v_subrev_u32_e32 v5, s63, v3
	v_cmp_le_u32_e32 vcc, s63, v3
	v_cndmask_b32_e32 v3, v3, v5, vcc
	v_cndmask_b32_e32 v4, v4, v6, vcc
	v_add_u32_e32 v5, 1, v4
	v_cmp_le_u32_e32 vcc, s63, v3
	v_cndmask_b32_e32 v3, v4, v5, vcc
	v_xor_b32_e32 v3, v3, v2
	v_sub_u32_e32 v5, v3, v2
	v_ashrrev_i32_e32 v6, 31, v5
.LBB8_14:                               ;   in Loop: Header=BB8_12 Depth=1
	s_andn2_saveexec_b64 s[2:3], s[2:3]
	s_cbranch_execz .LBB8_16
; %bb.15:                               ;   in Loop: Header=BB8_12 Depth=1
	v_mul_hi_u32 v2, v29, v31
	v_mov_b32_e32 v6, v1
	v_mul_lo_u32 v3, v2, s55
	v_add_u32_e32 v4, 1, v2
	v_sub_u32_e32 v3, v29, v3
	v_subrev_u32_e32 v5, s55, v3
	v_cmp_le_u32_e32 vcc, s55, v3
	v_cndmask_b32_e32 v3, v3, v5, vcc
	v_cndmask_b32_e32 v2, v2, v4, vcc
	v_add_u32_e32 v4, 1, v2
	v_cmp_le_u32_e32 vcc, s55, v3
	v_cndmask_b32_e32 v5, v2, v4, vcc
.LBB8_16:                               ;   in Loop: Header=BB8_12 Depth=1
	s_or_b64 exec, exec, s[2:3]
	v_mul_lo_u32 v4, v6, s55
	v_mul_lo_u32 v6, v5, s54
	v_mad_u64_u32 v[2:3], s[2:3], v5, s55, 0
	v_add3_u32 v3, v3, v6, v4
	v_sub_co_u32_e32 v2, vcc, v29, v2
	v_subb_co_u32_e32 v3, vcc, v8, v3, vcc
	v_mul_lo_u32 v6, v3, s65
	v_mul_lo_u32 v7, v2, s60
	v_mad_u64_u32 v[3:4], s[2:3], v2, s65, 0
	v_add3_u32 v4, v4, v7, v6
	v_or_b32_e32 v2, s54, v4
	v_cmp_ne_u64_e32 vcc, 0, v[1:2]
                                        ; implicit-def: $vgpr6_vgpr7
	s_and_saveexec_b64 s[2:3], vcc
	s_xor_b64 s[4:5], exec, s[2:3]
	s_cbranch_execz .LBB8_18
; %bb.17:                               ;   in Loop: Header=BB8_12 Depth=1
	s_add_u32 s2, s55, s28
	s_mov_b32 s29, s28
	s_addc_u32 s3, s54, s28
	s_xor_b64 s[6:7], s[2:3], s[28:29]
	v_cvt_f32_u32_e32 v2, s6
	v_cvt_f32_u32_e32 v6, s7
	s_sub_u32 s27, 0, s6
	s_subb_u32 s29, 0, s7
	v_ashrrev_i32_e32 v9, 31, v4
	v_mac_f32_e32 v2, 0x4f800000, v6
	v_rcp_f32_e32 v2, v2
	v_mul_f32_e32 v2, 0x5f7ffffc, v2
	v_mul_f32_e32 v6, 0x2f800000, v2
	v_trunc_f32_e32 v6, v6
	v_mac_f32_e32 v2, 0xcf800000, v6
	v_cvt_u32_f32_e32 v6, v6
	v_cvt_u32_f32_e32 v2, v2
	v_readfirstlane_b32 s30, v6
	v_readfirstlane_b32 s2, v2
	s_mul_i32 s3, s27, s30
	s_mul_hi_u32 s34, s27, s2
	s_mul_i32 s31, s29, s2
	s_add_i32 s3, s34, s3
	s_add_i32 s3, s3, s31
	s_mul_i32 s35, s27, s2
	s_mul_i32 s34, s2, s3
	s_mul_hi_u32 s36, s2, s35
	s_mul_hi_u32 s31, s2, s3
	s_add_u32 s34, s36, s34
	s_addc_u32 s31, 0, s31
	s_mul_hi_u32 s37, s30, s35
	s_mul_i32 s35, s30, s35
	s_add_u32 s34, s34, s35
	s_mul_hi_u32 s36, s30, s3
	s_addc_u32 s31, s31, s37
	s_addc_u32 s34, s36, 0
	s_mul_i32 s3, s30, s3
	s_add_u32 s3, s31, s3
	s_addc_u32 s31, 0, s34
	s_add_u32 s34, s2, s3
	s_cselect_b64 s[2:3], -1, 0
	s_cmp_lg_u64 s[2:3], 0
	s_addc_u32 s30, s30, s31
	s_mul_i32 s2, s27, s30
	s_mul_hi_u32 s3, s27, s34
	s_add_i32 s2, s3, s2
	s_mul_i32 s29, s29, s34
	s_add_i32 s2, s2, s29
	s_mul_i32 s27, s27, s34
	s_mul_hi_u32 s29, s30, s27
	s_mul_i32 s31, s30, s27
	s_mul_i32 s36, s34, s2
	s_mul_hi_u32 s27, s34, s27
	s_mul_hi_u32 s35, s34, s2
	s_add_u32 s27, s27, s36
	s_addc_u32 s35, 0, s35
	s_add_u32 s27, s27, s31
	s_mul_hi_u32 s3, s30, s2
	s_addc_u32 s27, s35, s29
	s_addc_u32 s3, s3, 0
	s_mul_i32 s2, s30, s2
	s_add_u32 s2, s27, s2
	s_addc_u32 s27, 0, s3
	s_add_u32 s29, s34, s2
	s_cselect_b64 s[2:3], -1, 0
	s_cmp_lg_u64 s[2:3], 0
	v_add_co_u32_e32 v2, vcc, v3, v9
	s_addc_u32 s27, s30, s27
	v_xor_b32_e32 v10, v2, v9
	v_mad_u64_u32 v[2:3], s[2:3], v10, s27, 0
	v_mul_hi_u32 v6, v10, s29
	v_addc_co_u32_e32 v4, vcc, v4, v9, vcc
	v_xor_b32_e32 v4, v4, v9
	v_add_co_u32_e32 v11, vcc, v6, v2
	v_addc_co_u32_e32 v12, vcc, 0, v3, vcc
	v_mad_u64_u32 v[2:3], s[2:3], v4, s29, 0
	v_mad_u64_u32 v[6:7], s[2:3], v4, s27, 0
	v_add_co_u32_e32 v2, vcc, v11, v2
	v_addc_co_u32_e32 v2, vcc, v12, v3, vcc
	v_addc_co_u32_e32 v3, vcc, 0, v7, vcc
	v_add_co_u32_e32 v6, vcc, v2, v6
	v_addc_co_u32_e32 v2, vcc, 0, v3, vcc
	v_mul_lo_u32 v7, s7, v6
	v_mul_lo_u32 v11, s6, v2
	v_mad_u64_u32 v[2:3], s[2:3], s6, v6, 0
	v_add3_u32 v3, v3, v11, v7
	v_sub_u32_e32 v7, v4, v3
	v_mov_b32_e32 v11, s7
	v_sub_co_u32_e32 v2, vcc, v10, v2
	v_subb_co_u32_e64 v7, s[2:3], v7, v11, vcc
	v_subrev_co_u32_e64 v10, s[2:3], s6, v2
	v_subbrev_co_u32_e64 v7, s[2:3], 0, v7, s[2:3]
	v_cmp_le_u32_e64 s[2:3], s7, v7
	v_subb_co_u32_e32 v3, vcc, v4, v3, vcc
	v_cndmask_b32_e64 v11, 0, -1, s[2:3]
	v_cmp_le_u32_e64 s[2:3], s6, v10
	v_cmp_le_u32_e32 vcc, s7, v3
	v_cndmask_b32_e64 v10, 0, -1, s[2:3]
	v_cmp_eq_u32_e64 s[2:3], s7, v7
	v_cndmask_b32_e64 v4, 0, -1, vcc
	v_cmp_le_u32_e32 vcc, s6, v2
	v_cndmask_b32_e64 v7, v11, v10, s[2:3]
	v_cndmask_b32_e64 v2, 0, -1, vcc
	v_cmp_eq_u32_e32 vcc, s7, v3
	v_add_co_u32_e64 v10, s[2:3], 2, v6
	v_add_co_u32_e64 v11, s[2:3], 1, v6
	v_cndmask_b32_e32 v2, v4, v2, vcc
	v_cmp_ne_u32_e32 vcc, 0, v7
	v_cndmask_b32_e32 v3, v11, v10, vcc
	v_cmp_ne_u32_e32 vcc, 0, v2
	v_cndmask_b32_e32 v2, v6, v3, vcc
	v_xor_b32_e32 v3, s28, v9
	v_xor_b32_e32 v2, v2, v3
	v_sub_co_u32_e32 v6, vcc, v2, v3
                                        ; implicit-def: $vgpr3_vgpr4
.LBB8_18:                               ;   in Loop: Header=BB8_12 Depth=1
	s_andn2_saveexec_b64 s[2:3], s[4:5]
	s_cbranch_execz .LBB8_20
; %bb.19:                               ;   in Loop: Header=BB8_12 Depth=1
	v_mul_hi_u32 v2, v3, v31
	v_mul_lo_u32 v4, v2, s55
	v_add_u32_e32 v6, 1, v2
	v_sub_u32_e32 v3, v3, v4
	v_subrev_u32_e32 v4, s55, v3
	v_cmp_le_u32_e32 vcc, s55, v3
	v_cndmask_b32_e32 v3, v3, v4, vcc
	v_cndmask_b32_e32 v2, v2, v6, vcc
	v_add_u32_e32 v4, 1, v2
	v_cmp_le_u32_e32 vcc, s55, v3
	v_cndmask_b32_e32 v6, v2, v4, vcc
.LBB8_20:                               ;   in Loop: Header=BB8_12 Depth=1
	s_or_b64 exec, exec, s[2:3]
	v_add_co_u32_e32 v2, vcc, 1, v29
	v_addc_co_u32_e32 v3, vcc, 0, v8, vcc
	v_mul_lo_u32 v7, v2, s60
	v_mul_lo_u32 v8, v3, s65
	v_mad_u64_u32 v[3:4], s[2:3], v2, s65, -1
	v_add3_u32 v4, v8, v4, v7
	v_or_b32_e32 v2, s54, v4
	v_cmp_ne_u64_e32 vcc, 0, v[1:2]
                                        ; implicit-def: $vgpr7_vgpr8
	s_and_saveexec_b64 s[2:3], vcc
	s_xor_b64 s[4:5], exec, s[2:3]
	s_cbranch_execnz .LBB8_23
; %bb.21:                               ;   in Loop: Header=BB8_12 Depth=1
	s_andn2_saveexec_b64 s[2:3], s[4:5]
	s_cbranch_execnz .LBB8_24
.LBB8_22:                               ;   in Loop: Header=BB8_12 Depth=1
	s_or_b64 exec, exec, s[2:3]
	s_and_saveexec_b64 s[30:31], s[0:1]
	s_cbranch_execz .LBB8_11
	s_branch .LBB8_25
.LBB8_23:                               ;   in Loop: Header=BB8_12 Depth=1
	s_add_u32 s2, s55, s28
	s_mov_b32 s29, s28
	s_addc_u32 s3, s54, s28
	s_xor_b64 s[6:7], s[2:3], s[28:29]
	v_cvt_f32_u32_e32 v2, s6
	v_cvt_f32_u32_e32 v7, s7
	s_sub_u32 s27, 0, s6
	s_subb_u32 s29, 0, s7
	v_ashrrev_i32_e32 v9, 31, v4
	v_mac_f32_e32 v2, 0x4f800000, v7
	v_rcp_f32_e32 v2, v2
	v_mul_f32_e32 v2, 0x5f7ffffc, v2
	v_mul_f32_e32 v7, 0x2f800000, v2
	v_trunc_f32_e32 v7, v7
	v_mac_f32_e32 v2, 0xcf800000, v7
	v_cvt_u32_f32_e32 v7, v7
	v_cvt_u32_f32_e32 v2, v2
	v_readfirstlane_b32 s30, v7
	v_readfirstlane_b32 s2, v2
	s_mul_i32 s3, s27, s30
	s_mul_hi_u32 s34, s27, s2
	s_mul_i32 s31, s29, s2
	s_add_i32 s3, s34, s3
	s_add_i32 s3, s3, s31
	s_mul_i32 s35, s27, s2
	s_mul_i32 s34, s2, s3
	s_mul_hi_u32 s36, s2, s35
	s_mul_hi_u32 s31, s2, s3
	s_add_u32 s34, s36, s34
	s_addc_u32 s31, 0, s31
	s_mul_hi_u32 s37, s30, s35
	s_mul_i32 s35, s30, s35
	s_add_u32 s34, s34, s35
	s_mul_hi_u32 s36, s30, s3
	s_addc_u32 s31, s31, s37
	s_addc_u32 s34, s36, 0
	s_mul_i32 s3, s30, s3
	s_add_u32 s3, s31, s3
	s_addc_u32 s31, 0, s34
	s_add_u32 s34, s2, s3
	s_cselect_b64 s[2:3], -1, 0
	s_cmp_lg_u64 s[2:3], 0
	s_addc_u32 s30, s30, s31
	s_mul_i32 s2, s27, s30
	s_mul_hi_u32 s3, s27, s34
	s_add_i32 s2, s3, s2
	s_mul_i32 s29, s29, s34
	s_add_i32 s2, s2, s29
	s_mul_i32 s27, s27, s34
	s_mul_hi_u32 s29, s30, s27
	s_mul_i32 s31, s30, s27
	s_mul_i32 s36, s34, s2
	s_mul_hi_u32 s27, s34, s27
	s_mul_hi_u32 s35, s34, s2
	s_add_u32 s27, s27, s36
	s_addc_u32 s35, 0, s35
	s_add_u32 s27, s27, s31
	s_mul_hi_u32 s3, s30, s2
	s_addc_u32 s27, s35, s29
	s_addc_u32 s3, s3, 0
	s_mul_i32 s2, s30, s2
	s_add_u32 s2, s27, s2
	s_addc_u32 s27, 0, s3
	s_add_u32 s29, s34, s2
	s_cselect_b64 s[2:3], -1, 0
	s_cmp_lg_u64 s[2:3], 0
	v_add_co_u32_e32 v2, vcc, v3, v9
	s_addc_u32 s27, s30, s27
	v_xor_b32_e32 v10, v2, v9
	v_mad_u64_u32 v[2:3], s[2:3], v10, s27, 0
	v_mul_hi_u32 v7, v10, s29
	v_addc_co_u32_e32 v4, vcc, v4, v9, vcc
	v_xor_b32_e32 v4, v4, v9
	v_add_co_u32_e32 v11, vcc, v7, v2
	v_addc_co_u32_e32 v12, vcc, 0, v3, vcc
	v_mad_u64_u32 v[2:3], s[2:3], v4, s29, 0
	v_mad_u64_u32 v[7:8], s[2:3], v4, s27, 0
	v_add_co_u32_e32 v2, vcc, v11, v2
	v_addc_co_u32_e32 v2, vcc, v12, v3, vcc
	v_addc_co_u32_e32 v3, vcc, 0, v8, vcc
	v_add_co_u32_e32 v7, vcc, v2, v7
	v_addc_co_u32_e32 v2, vcc, 0, v3, vcc
	v_mul_lo_u32 v8, s7, v7
	v_mul_lo_u32 v11, s6, v2
	v_mad_u64_u32 v[2:3], s[2:3], s6, v7, 0
	v_add3_u32 v3, v3, v11, v8
	v_sub_u32_e32 v8, v4, v3
	v_mov_b32_e32 v11, s7
	v_sub_co_u32_e32 v2, vcc, v10, v2
	v_subb_co_u32_e64 v8, s[2:3], v8, v11, vcc
	v_subrev_co_u32_e64 v10, s[2:3], s6, v2
	v_subbrev_co_u32_e64 v8, s[2:3], 0, v8, s[2:3]
	v_cmp_le_u32_e64 s[2:3], s7, v8
	v_subb_co_u32_e32 v3, vcc, v4, v3, vcc
	v_cndmask_b32_e64 v11, 0, -1, s[2:3]
	v_cmp_le_u32_e64 s[2:3], s6, v10
	v_cmp_le_u32_e32 vcc, s7, v3
	v_cndmask_b32_e64 v10, 0, -1, s[2:3]
	v_cmp_eq_u32_e64 s[2:3], s7, v8
	v_cndmask_b32_e64 v4, 0, -1, vcc
	v_cmp_le_u32_e32 vcc, s6, v2
	v_cndmask_b32_e64 v8, v11, v10, s[2:3]
	v_cndmask_b32_e64 v2, 0, -1, vcc
	v_cmp_eq_u32_e32 vcc, s7, v3
	v_add_co_u32_e64 v10, s[2:3], 2, v7
	v_add_co_u32_e64 v11, s[2:3], 1, v7
	v_cndmask_b32_e32 v2, v4, v2, vcc
	v_cmp_ne_u32_e32 vcc, 0, v8
	v_cndmask_b32_e32 v3, v11, v10, vcc
	v_cmp_ne_u32_e32 vcc, 0, v2
	v_cndmask_b32_e32 v2, v7, v3, vcc
	v_xor_b32_e32 v3, s28, v9
	v_xor_b32_e32 v2, v2, v3
	v_sub_co_u32_e32 v7, vcc, v2, v3
                                        ; implicit-def: $vgpr3_vgpr4
	s_andn2_saveexec_b64 s[2:3], s[4:5]
	s_cbranch_execz .LBB8_22
.LBB8_24:                               ;   in Loop: Header=BB8_12 Depth=1
	v_mul_hi_u32 v2, v3, v31
	v_mul_lo_u32 v4, v2, s55
	v_add_u32_e32 v7, 1, v2
	v_sub_u32_e32 v3, v3, v4
	v_subrev_u32_e32 v4, s55, v3
	v_cmp_le_u32_e32 vcc, s55, v3
	v_cndmask_b32_e32 v3, v3, v4, vcc
	v_cndmask_b32_e32 v2, v2, v7, vcc
	v_add_u32_e32 v4, 1, v2
	v_cmp_le_u32_e32 vcc, s55, v3
	v_cndmask_b32_e32 v7, v2, v4, vcc
	s_or_b64 exec, exec, s[2:3]
	s_and_saveexec_b64 s[30:31], s[0:1]
	s_cbranch_execz .LBB8_11
.LBB8_25:                               ;   in Loop: Header=BB8_12 Depth=1
	v_mul_lo_u32 v8, v29, s10
	v_add_u32_e32 v32, 1, v7
	v_mad_u64_u32 v[3:4], s[2:3], v5, s65, v[6:7]
	v_ashrrev_i32_e32 v9, 31, v8
	v_lshlrev_b64 v[7:8], 3, v[8:9]
	v_mov_b32_e32 v2, s59
	v_mad_u64_u32 v[4:5], s[2:3], s12, v5, v[6:7]
	v_add_co_u32_e32 v33, vcc, s58, v7
	v_addc_co_u32_e32 v34, vcc, v2, v8, vcc
	v_cmp_gt_i32_e64 s[2:3], v32, v3
	s_mov_b64 s[34:35], 0
	v_mov_b32_e32 v5, v0
	s_branch .LBB8_27
.LBB8_26:                               ;   in Loop: Header=BB8_27 Depth=2
	v_add_u32_e32 v5, s11, v5
	v_cmp_le_i32_e32 vcc, s10, v5
	s_or_b64 s[34:35], vcc, s[34:35]
	s_andn2_b64 exec, exec, s[34:35]
	s_cbranch_execz .LBB8_11
.LBB8_27:                               ;   Parent Loop BB8_12 Depth=1
                                        ; =>  This Loop Header: Depth=2
                                        ;       Child Loop BB8_42 Depth 3
                                        ;         Child Loop BB8_56 Depth 4
                                        ;           Child Loop BB8_71 Depth 5
	s_mov_b32 s27, s56
	s_cmp_lg_u64 s[26:27], 0
	v_mov_b32_e32 v6, v1
	s_cselect_b64 s[4:5], -1, 0
                                        ; implicit-def: $vgpr12_vgpr13
	s_and_saveexec_b64 s[6:7], s[4:5]
	s_xor_b64 s[6:7], exec, s[6:7]
	s_cbranch_execz .LBB8_29
; %bb.28:                               ;   in Loop: Header=BB8_27 Depth=2
	s_ashr_i32 s36, s56, 31
	s_add_u32 s4, s57, s36
	s_mov_b32 s37, s36
	s_addc_u32 s5, s56, s36
	s_xor_b64 s[38:39], s[4:5], s[36:37]
	v_cvt_f32_u32_e32 v2, s38
	v_cvt_f32_u32_e32 v7, s39
	s_sub_u32 s27, 0, s38
	s_subb_u32 s29, 0, s39
	v_mac_f32_e32 v2, 0x4f800000, v7
	v_rcp_f32_e32 v2, v2
	v_mul_f32_e32 v2, 0x5f7ffffc, v2
	v_mul_f32_e32 v7, 0x2f800000, v2
	v_trunc_f32_e32 v7, v7
	v_mac_f32_e32 v2, 0xcf800000, v7
	v_cvt_u32_f32_e32 v7, v7
	v_cvt_u32_f32_e32 v2, v2
	v_readfirstlane_b32 s37, v7
	v_readfirstlane_b32 s4, v2
	s_mul_i32 s5, s27, s37
	s_mul_hi_u32 s41, s27, s4
	s_mul_i32 s40, s29, s4
	s_add_i32 s5, s41, s5
	s_add_i32 s5, s5, s40
	s_mul_i32 s42, s27, s4
	s_mul_i32 s41, s4, s5
	s_mul_hi_u32 s43, s4, s42
	s_mul_hi_u32 s40, s4, s5
	s_add_u32 s41, s43, s41
	s_addc_u32 s40, 0, s40
	s_mul_hi_u32 s44, s37, s42
	s_mul_i32 s42, s37, s42
	s_add_u32 s41, s41, s42
	s_mul_hi_u32 s43, s37, s5
	s_addc_u32 s40, s40, s44
	s_addc_u32 s41, s43, 0
	s_mul_i32 s5, s37, s5
	s_add_u32 s5, s40, s5
	s_addc_u32 s40, 0, s41
	s_add_u32 s41, s4, s5
	s_cselect_b64 s[4:5], -1, 0
	s_cmp_lg_u64 s[4:5], 0
	s_addc_u32 s37, s37, s40
	s_mul_i32 s4, s27, s37
	s_mul_hi_u32 s5, s27, s41
	s_add_i32 s4, s5, s4
	s_mul_i32 s29, s29, s41
	s_add_i32 s4, s4, s29
	s_mul_i32 s27, s27, s41
	s_mul_hi_u32 s29, s37, s27
	s_mul_i32 s40, s37, s27
	s_mul_i32 s43, s41, s4
	s_mul_hi_u32 s27, s41, s27
	s_mul_hi_u32 s42, s41, s4
	s_add_u32 s27, s27, s43
	s_addc_u32 s42, 0, s42
	s_add_u32 s27, s27, s40
	s_mul_hi_u32 s5, s37, s4
	s_addc_u32 s27, s42, s29
	s_addc_u32 s5, s5, 0
	s_mul_i32 s4, s37, s4
	s_add_u32 s4, s27, s4
	s_addc_u32 s27, 0, s5
	s_add_u32 s29, s41, s4
	s_cselect_b64 s[4:5], -1, 0
	s_cmp_lg_u64 s[4:5], 0
	s_addc_u32 s27, s37, s27
	v_add_co_u32_e32 v2, vcc, 0, v5
	v_mad_u64_u32 v[7:8], s[4:5], v2, s27, 0
	v_mul_hi_u32 v9, v2, s29
	v_addc_co_u32_e64 v11, s[4:5], 0, 0, vcc
	v_add_co_u32_e32 v12, vcc, v9, v7
	v_addc_co_u32_e32 v13, vcc, 0, v8, vcc
	v_mad_u64_u32 v[7:8], s[4:5], v11, s29, 0
	v_mad_u64_u32 v[9:10], s[4:5], v11, s27, 0
	v_add_co_u32_e32 v7, vcc, v12, v7
	v_addc_co_u32_e32 v7, vcc, v13, v8, vcc
	v_addc_co_u32_e32 v8, vcc, 0, v10, vcc
	v_add_co_u32_e32 v9, vcc, v7, v9
	v_addc_co_u32_e32 v10, vcc, 0, v8, vcc
	v_mul_lo_u32 v12, s39, v9
	v_mul_lo_u32 v13, s38, v10
	v_mad_u64_u32 v[7:8], s[4:5], s38, v9, 0
	v_add3_u32 v8, v8, v13, v12
	v_sub_u32_e32 v12, v11, v8
	v_mov_b32_e32 v13, s39
	v_sub_co_u32_e32 v2, vcc, v2, v7
	v_subb_co_u32_e64 v7, s[4:5], v12, v13, vcc
	v_subrev_co_u32_e64 v12, s[4:5], s38, v2
	v_subbrev_co_u32_e64 v7, s[4:5], 0, v7, s[4:5]
	v_cmp_le_u32_e64 s[4:5], s39, v7
	v_cndmask_b32_e64 v13, 0, -1, s[4:5]
	v_cmp_le_u32_e64 s[4:5], s38, v12
	v_cndmask_b32_e64 v12, 0, -1, s[4:5]
	v_cmp_eq_u32_e64 s[4:5], s39, v7
	v_cndmask_b32_e64 v7, v13, v12, s[4:5]
	v_add_co_u32_e64 v12, s[4:5], 2, v9
	v_subb_co_u32_e32 v8, vcc, v11, v8, vcc
	v_addc_co_u32_e64 v13, s[4:5], 0, v10, s[4:5]
	v_cmp_le_u32_e32 vcc, s39, v8
	v_add_co_u32_e64 v14, s[4:5], 1, v9
	v_cndmask_b32_e64 v11, 0, -1, vcc
	v_cmp_le_u32_e32 vcc, s38, v2
	v_addc_co_u32_e64 v15, s[4:5], 0, v10, s[4:5]
	v_cndmask_b32_e64 v2, 0, -1, vcc
	v_cmp_eq_u32_e32 vcc, s39, v8
	v_cmp_ne_u32_e64 s[4:5], 0, v7
	v_cndmask_b32_e32 v2, v11, v2, vcc
	v_cndmask_b32_e64 v7, v15, v13, s[4:5]
	v_cmp_ne_u32_e32 vcc, 0, v2
	v_cndmask_b32_e32 v2, v10, v7, vcc
	v_cndmask_b32_e64 v7, v14, v12, s[4:5]
	v_cndmask_b32_e32 v7, v9, v7, vcc
	v_xor_b32_e32 v7, s36, v7
	v_xor_b32_e32 v2, s36, v2
	v_mov_b32_e32 v8, s36
	v_subrev_co_u32_e32 v12, vcc, s36, v7
	v_subb_co_u32_e32 v13, vcc, v2, v8, vcc
.LBB8_29:                               ;   in Loop: Header=BB8_27 Depth=2
	s_or_saveexec_b64 s[4:5], s[6:7]
	v_cvt_f32_u32_e32 v11, s57
	s_xor_b64 exec, exec, s[4:5]
	s_cbranch_execz .LBB8_31
; %bb.30:                               ;   in Loop: Header=BB8_27 Depth=2
	v_rcp_iflag_f32_e32 v2, v11
	s_sub_i32 s6, 0, s57
	v_mov_b32_e32 v13, v1
	v_mul_f32_e32 v2, 0x4f7ffffe, v2
	v_cvt_u32_f32_e32 v2, v2
	v_mul_lo_u32 v7, s6, v2
	v_mul_hi_u32 v7, v2, v7
	v_add_u32_e32 v2, v2, v7
	v_mul_hi_u32 v2, v5, v2
	v_mul_lo_u32 v7, v2, s57
	v_add_u32_e32 v8, 1, v2
	v_sub_u32_e32 v7, v5, v7
	v_subrev_u32_e32 v9, s57, v7
	v_cmp_le_u32_e32 vcc, s57, v7
	v_cndmask_b32_e32 v7, v7, v9, vcc
	v_cndmask_b32_e32 v2, v2, v8, vcc
	v_add_u32_e32 v8, 1, v2
	v_cmp_le_u32_e32 vcc, s57, v7
	v_cndmask_b32_e32 v12, v2, v8, vcc
.LBB8_31:                               ;   in Loop: Header=BB8_27 Depth=2
	s_or_b64 exec, exec, s[4:5]
	v_mul_lo_u32 v2, v13, s57
	v_mul_lo_u32 v9, v12, s56
	v_mad_u64_u32 v[7:8], s[4:5], v12, s57, 0
                                        ; implicit-def: $vgpr13_vgpr14
	v_add3_u32 v2, v8, v9, v2
	v_sub_co_u32_e32 v7, vcc, v5, v7
	v_subb_co_u32_e32 v2, vcc, 0, v2, vcc
	v_mul_lo_u32 v2, v2, s66
	v_mul_lo_u32 v9, v7, s61
	v_mad_u64_u32 v[7:8], s[4:5], v7, s66, 0
	v_add3_u32 v8, v8, v9, v2
	v_or_b32_e32 v2, s56, v8
	v_cmp_ne_u64_e32 vcc, 0, v[1:2]
	s_and_saveexec_b64 s[4:5], vcc
	s_xor_b64 s[6:7], exec, s[4:5]
	s_cbranch_execz .LBB8_33
; %bb.32:                               ;   in Loop: Header=BB8_27 Depth=2
	s_ashr_i32 s36, s56, 31
	s_add_u32 s4, s57, s36
	s_mov_b32 s37, s36
	s_addc_u32 s5, s56, s36
	s_xor_b64 s[38:39], s[4:5], s[36:37]
	v_cvt_f32_u32_e32 v2, s38
	v_cvt_f32_u32_e32 v9, s39
	s_sub_u32 s27, 0, s38
	s_subb_u32 s29, 0, s39
	v_mac_f32_e32 v2, 0x4f800000, v9
	v_rcp_f32_e32 v2, v2
	v_mul_f32_e32 v2, 0x5f7ffffc, v2
	v_mul_f32_e32 v9, 0x2f800000, v2
	v_trunc_f32_e32 v9, v9
	v_mac_f32_e32 v2, 0xcf800000, v9
	v_cvt_u32_f32_e32 v9, v9
	v_cvt_u32_f32_e32 v2, v2
	v_readfirstlane_b32 s37, v9
	v_readfirstlane_b32 s4, v2
	s_mul_i32 s5, s27, s37
	s_mul_hi_u32 s41, s27, s4
	s_mul_i32 s40, s29, s4
	s_add_i32 s5, s41, s5
	s_add_i32 s5, s5, s40
	s_mul_i32 s42, s27, s4
	s_mul_i32 s41, s4, s5
	s_mul_hi_u32 s43, s4, s42
	s_mul_hi_u32 s40, s4, s5
	s_add_u32 s41, s43, s41
	s_addc_u32 s40, 0, s40
	s_mul_hi_u32 s44, s37, s42
	s_mul_i32 s42, s37, s42
	s_add_u32 s41, s41, s42
	s_mul_hi_u32 s43, s37, s5
	s_addc_u32 s40, s40, s44
	s_addc_u32 s41, s43, 0
	s_mul_i32 s5, s37, s5
	s_add_u32 s5, s40, s5
	s_addc_u32 s40, 0, s41
	s_add_u32 s41, s4, s5
	s_cselect_b64 s[4:5], -1, 0
	s_cmp_lg_u64 s[4:5], 0
	s_addc_u32 s37, s37, s40
	s_mul_i32 s4, s27, s37
	s_mul_hi_u32 s5, s27, s41
	s_add_i32 s4, s5, s4
	s_mul_i32 s29, s29, s41
	s_add_i32 s4, s4, s29
	s_mul_i32 s27, s27, s41
	s_mul_hi_u32 s29, s37, s27
	s_mul_i32 s40, s37, s27
	s_mul_i32 s43, s41, s4
	s_mul_hi_u32 s27, s41, s27
	s_mul_hi_u32 s42, s41, s4
	s_add_u32 s27, s27, s43
	s_addc_u32 s42, 0, s42
	s_add_u32 s27, s27, s40
	s_mul_hi_u32 s5, s37, s4
	s_addc_u32 s27, s42, s29
	s_addc_u32 s5, s5, 0
	s_mul_i32 s4, s37, s4
	s_add_u32 s4, s27, s4
	s_addc_u32 s27, 0, s5
	s_add_u32 s29, s41, s4
	s_cselect_b64 s[4:5], -1, 0
	v_ashrrev_i32_e32 v2, 31, v8
	s_cmp_lg_u64 s[4:5], 0
	v_add_co_u32_e32 v7, vcc, v7, v2
	s_addc_u32 s27, s37, s27
	v_xor_b32_e32 v13, v7, v2
	v_addc_co_u32_e32 v9, vcc, v8, v2, vcc
	v_mad_u64_u32 v[7:8], s[4:5], v13, s27, 0
	v_mul_hi_u32 v10, v13, s29
	v_xor_b32_e32 v14, v9, v2
	v_xor_b32_e32 v2, s36, v2
	v_add_co_u32_e32 v15, vcc, v10, v7
	v_addc_co_u32_e32 v16, vcc, 0, v8, vcc
	v_mad_u64_u32 v[7:8], s[4:5], v14, s29, 0
	v_mad_u64_u32 v[9:10], s[4:5], v14, s27, 0
	v_add_co_u32_e32 v7, vcc, v15, v7
	v_addc_co_u32_e32 v7, vcc, v16, v8, vcc
	v_addc_co_u32_e32 v8, vcc, 0, v10, vcc
	v_add_co_u32_e32 v9, vcc, v7, v9
	v_addc_co_u32_e32 v7, vcc, 0, v8, vcc
	v_mul_lo_u32 v10, s39, v9
	v_mul_lo_u32 v15, s38, v7
	v_mad_u64_u32 v[7:8], s[4:5], s38, v9, 0
	v_add3_u32 v8, v8, v15, v10
	v_sub_u32_e32 v10, v14, v8
	v_mov_b32_e32 v15, s39
	v_sub_co_u32_e32 v7, vcc, v13, v7
	v_subb_co_u32_e64 v10, s[4:5], v10, v15, vcc
	v_subrev_co_u32_e64 v13, s[4:5], s38, v7
	v_subbrev_co_u32_e64 v10, s[4:5], 0, v10, s[4:5]
	v_cmp_le_u32_e64 s[4:5], s39, v10
	v_subb_co_u32_e32 v8, vcc, v14, v8, vcc
	v_cndmask_b32_e64 v15, 0, -1, s[4:5]
	v_cmp_le_u32_e64 s[4:5], s38, v13
	v_cmp_le_u32_e32 vcc, s39, v8
	v_cndmask_b32_e64 v13, 0, -1, s[4:5]
	v_cmp_eq_u32_e64 s[4:5], s39, v10
	v_cndmask_b32_e64 v14, 0, -1, vcc
	v_cmp_le_u32_e32 vcc, s38, v7
	v_cndmask_b32_e64 v10, v15, v13, s[4:5]
	v_cndmask_b32_e64 v7, 0, -1, vcc
	v_cmp_eq_u32_e32 vcc, s39, v8
	v_add_co_u32_e64 v13, s[4:5], 2, v9
	v_add_co_u32_e64 v15, s[4:5], 1, v9
	v_cndmask_b32_e32 v7, v14, v7, vcc
	v_cmp_ne_u32_e32 vcc, 0, v10
	v_cndmask_b32_e32 v8, v15, v13, vcc
	v_cmp_ne_u32_e32 vcc, 0, v7
	v_cndmask_b32_e32 v7, v9, v8, vcc
	v_xor_b32_e32 v7, v7, v2
	v_sub_co_u32_e32 v13, vcc, v7, v2
                                        ; implicit-def: $vgpr7_vgpr8
.LBB8_33:                               ;   in Loop: Header=BB8_27 Depth=2
	s_andn2_saveexec_b64 s[4:5], s[6:7]
	s_cbranch_execz .LBB8_35
; %bb.34:                               ;   in Loop: Header=BB8_27 Depth=2
	v_rcp_iflag_f32_e32 v2, v11
	s_sub_i32 s6, 0, s57
	v_mul_f32_e32 v2, 0x4f7ffffe, v2
	v_cvt_u32_f32_e32 v2, v2
	v_mul_lo_u32 v8, s6, v2
	v_mul_hi_u32 v8, v2, v8
	v_add_u32_e32 v2, v2, v8
	v_mul_hi_u32 v2, v7, v2
	v_mul_lo_u32 v8, v2, s57
	v_add_u32_e32 v9, 1, v2
	v_sub_u32_e32 v7, v7, v8
	v_subrev_u32_e32 v8, s57, v7
	v_cmp_le_u32_e32 vcc, s57, v7
	v_cndmask_b32_e32 v7, v7, v8, vcc
	v_cndmask_b32_e32 v2, v2, v9, vcc
	v_add_u32_e32 v8, 1, v2
	v_cmp_le_u32_e32 vcc, s57, v7
	v_cndmask_b32_e32 v13, v2, v8, vcc
.LBB8_35:                               ;   in Loop: Header=BB8_27 Depth=2
	s_or_b64 exec, exec, s[4:5]
	v_add_u32_e32 v9, 1, v5
	v_mad_u64_u32 v[7:8], s[4:5], v9, s66, -1
	v_mov_b32_e32 v2, v8
	v_mad_u64_u32 v[8:9], s[4:5], v9, s61, v[2:3]
                                        ; implicit-def: $vgpr9_vgpr10
	v_or_b32_e32 v2, s56, v8
	v_cmp_ne_u64_e32 vcc, 0, v[1:2]
	v_mov_b32_e32 v2, v8
	s_and_saveexec_b64 s[4:5], vcc
	s_xor_b64 s[6:7], exec, s[4:5]
	s_cbranch_execnz .LBB8_38
; %bb.36:                               ;   in Loop: Header=BB8_27 Depth=2
	s_andn2_saveexec_b64 s[4:5], s[6:7]
	s_cbranch_execnz .LBB8_39
.LBB8_37:                               ;   in Loop: Header=BB8_27 Depth=2
	s_or_b64 exec, exec, s[4:5]
	s_andn2_b64 vcc, exec, s[18:19]
	s_cbranch_vccnz .LBB8_26
	s_branch .LBB8_40
.LBB8_38:                               ;   in Loop: Header=BB8_27 Depth=2
	s_ashr_i32 s36, s56, 31
	s_add_u32 s4, s57, s36
	s_mov_b32 s37, s36
	s_addc_u32 s5, s56, s36
	s_xor_b64 s[38:39], s[4:5], s[36:37]
	v_cvt_f32_u32_e32 v8, s38
	v_cvt_f32_u32_e32 v9, s39
	s_sub_u32 s27, 0, s38
	s_subb_u32 s29, 0, s39
	v_ashrrev_i32_e32 v11, 31, v2
	v_mac_f32_e32 v8, 0x4f800000, v9
	v_rcp_f32_e32 v8, v8
	v_add_co_u32_e32 v7, vcc, v7, v11
	v_xor_b32_e32 v14, v7, v11
	v_mul_f32_e32 v8, 0x5f7ffffc, v8
	v_mul_f32_e32 v9, 0x2f800000, v8
	v_trunc_f32_e32 v9, v9
	v_mac_f32_e32 v8, 0xcf800000, v9
	v_cvt_u32_f32_e32 v9, v9
	v_cvt_u32_f32_e32 v8, v8
	v_addc_co_u32_e32 v2, vcc, v2, v11, vcc
	v_readfirstlane_b32 s37, v9
	v_readfirstlane_b32 s4, v8
	s_mul_i32 s5, s27, s37
	s_mul_hi_u32 s41, s27, s4
	s_mul_i32 s40, s29, s4
	s_add_i32 s5, s41, s5
	s_add_i32 s5, s5, s40
	s_mul_i32 s42, s27, s4
	s_mul_i32 s41, s4, s5
	s_mul_hi_u32 s43, s4, s42
	s_mul_hi_u32 s40, s4, s5
	s_add_u32 s41, s43, s41
	s_addc_u32 s40, 0, s40
	s_mul_hi_u32 s44, s37, s42
	s_mul_i32 s42, s37, s42
	s_add_u32 s41, s41, s42
	s_mul_hi_u32 s43, s37, s5
	s_addc_u32 s40, s40, s44
	s_addc_u32 s41, s43, 0
	s_mul_i32 s5, s37, s5
	s_add_u32 s5, s40, s5
	s_addc_u32 s40, 0, s41
	s_add_u32 s41, s4, s5
	s_cselect_b64 s[4:5], -1, 0
	s_cmp_lg_u64 s[4:5], 0
	s_addc_u32 s37, s37, s40
	s_mul_i32 s4, s27, s37
	s_mul_hi_u32 s5, s27, s41
	s_add_i32 s4, s5, s4
	s_mul_i32 s29, s29, s41
	s_add_i32 s4, s4, s29
	s_mul_i32 s27, s27, s41
	s_mul_hi_u32 s29, s37, s27
	s_mul_i32 s40, s37, s27
	s_mul_i32 s43, s41, s4
	s_mul_hi_u32 s27, s41, s27
	s_mul_hi_u32 s42, s41, s4
	s_add_u32 s27, s27, s43
	s_addc_u32 s42, 0, s42
	s_add_u32 s27, s27, s40
	s_mul_hi_u32 s5, s37, s4
	s_addc_u32 s27, s42, s29
	s_addc_u32 s5, s5, 0
	s_mul_i32 s4, s37, s4
	s_add_u32 s4, s27, s4
	s_addc_u32 s27, 0, s5
	s_add_u32 s29, s41, s4
	s_cselect_b64 s[4:5], -1, 0
	s_cmp_lg_u64 s[4:5], 0
	s_addc_u32 s27, s37, s27
	v_mad_u64_u32 v[7:8], s[4:5], v14, s27, 0
	v_mul_hi_u32 v9, v14, s29
	v_xor_b32_e32 v2, v2, v11
	v_add_co_u32_e32 v15, vcc, v9, v7
	v_addc_co_u32_e32 v16, vcc, 0, v8, vcc
	v_mad_u64_u32 v[7:8], s[4:5], v2, s29, 0
	v_mad_u64_u32 v[9:10], s[4:5], v2, s27, 0
	v_add_co_u32_e32 v7, vcc, v15, v7
	v_addc_co_u32_e32 v7, vcc, v16, v8, vcc
	v_addc_co_u32_e32 v8, vcc, 0, v10, vcc
	v_add_co_u32_e32 v9, vcc, v7, v9
	v_addc_co_u32_e32 v7, vcc, 0, v8, vcc
	v_mul_lo_u32 v10, s39, v9
	v_mul_lo_u32 v15, s38, v7
	v_mad_u64_u32 v[7:8], s[4:5], s38, v9, 0
	v_add3_u32 v8, v8, v15, v10
	v_sub_u32_e32 v10, v2, v8
	v_mov_b32_e32 v15, s39
	v_sub_co_u32_e32 v7, vcc, v14, v7
	v_subb_co_u32_e64 v10, s[4:5], v10, v15, vcc
	v_subrev_co_u32_e64 v14, s[4:5], s38, v7
	v_subbrev_co_u32_e64 v10, s[4:5], 0, v10, s[4:5]
	v_cmp_le_u32_e64 s[4:5], s39, v10
	v_subb_co_u32_e32 v2, vcc, v2, v8, vcc
	v_cndmask_b32_e64 v15, 0, -1, s[4:5]
	v_cmp_le_u32_e64 s[4:5], s38, v14
	v_cmp_le_u32_e32 vcc, s39, v2
	v_cndmask_b32_e64 v14, 0, -1, s[4:5]
	v_cmp_eq_u32_e64 s[4:5], s39, v10
	v_cndmask_b32_e64 v8, 0, -1, vcc
	v_cmp_le_u32_e32 vcc, s38, v7
	v_cndmask_b32_e64 v10, v15, v14, s[4:5]
	v_cndmask_b32_e64 v7, 0, -1, vcc
	v_cmp_eq_u32_e32 vcc, s39, v2
	v_add_co_u32_e64 v14, s[4:5], 2, v9
	v_add_co_u32_e64 v15, s[4:5], 1, v9
	v_cndmask_b32_e32 v2, v8, v7, vcc
	v_cmp_ne_u32_e32 vcc, 0, v10
	v_cndmask_b32_e32 v7, v15, v14, vcc
	v_cmp_ne_u32_e32 vcc, 0, v2
	v_cndmask_b32_e32 v2, v9, v7, vcc
	v_xor_b32_e32 v7, s36, v11
	v_xor_b32_e32 v2, v2, v7
	v_sub_co_u32_e32 v9, vcc, v2, v7
                                        ; implicit-def: $vgpr11
                                        ; implicit-def: $vgpr7_vgpr8
	s_andn2_saveexec_b64 s[4:5], s[6:7]
	s_cbranch_execz .LBB8_37
.LBB8_39:                               ;   in Loop: Header=BB8_27 Depth=2
	v_rcp_iflag_f32_e32 v2, v11
	s_sub_i32 s6, 0, s57
	v_mul_f32_e32 v2, 0x4f7ffffe, v2
	v_cvt_u32_f32_e32 v2, v2
	v_mul_lo_u32 v8, s6, v2
	v_mul_hi_u32 v8, v2, v8
	v_add_u32_e32 v2, v2, v8
	v_mul_hi_u32 v2, v7, v2
	v_mul_lo_u32 v8, v2, s57
	v_add_u32_e32 v9, 1, v2
	v_sub_u32_e32 v7, v7, v8
	v_subrev_u32_e32 v8, s57, v7
	v_cmp_le_u32_e32 vcc, s57, v7
	v_cndmask_b32_e32 v7, v7, v8, vcc
	v_cndmask_b32_e32 v2, v2, v9, vcc
	v_add_u32_e32 v8, 1, v2
	v_cmp_le_u32_e32 vcc, s57, v7
	v_cndmask_b32_e32 v9, v2, v8, vcc
	s_or_b64 exec, exec, s[4:5]
	s_andn2_b64 vcc, exec, s[18:19]
	s_cbranch_vccnz .LBB8_26
.LBB8_40:                               ;   in Loop: Header=BB8_27 Depth=2
	v_add_u32_e32 v35, 1, v9
	v_lshlrev_b64 v[8:9], 3, v[5:6]
	v_mad_u64_u32 v[6:7], s[4:5], v12, s66, v[13:14]
	v_add_co_u32_e32 v8, vcc, v33, v8
	v_addc_co_u32_e32 v9, vcc, v34, v9, vcc
	v_ashrrev_i32_e32 v7, 31, v6
	v_add_co_u32_e32 v2, vcc, 1, v6
	v_addc_co_u32_e32 v10, vcc, 0, v7, vcc
	v_mul_lo_u32 v14, s57, v10
	v_mul_lo_u32 v15, s56, v2
	v_mad_u64_u32 v[10:11], s[6:7], s57, v2, -1
	v_add_u32_e32 v2, v4, v12
	v_mad_u64_u32 v[12:13], s[6:7], s13, v2, v[13:14]
	v_cmp_gt_i32_e64 s[4:5], v35, v6
	v_add3_u32 v11, v15, v11, v14
	s_mov_b64 s[36:37], s[20:21]
	s_mov_b32 s38, s8
	s_branch .LBB8_42
.LBB8_41:                               ;   in Loop: Header=BB8_42 Depth=3
	s_or_b64 exec, exec, s[40:41]
	s_add_i32 s38, s38, 1
	s_add_u32 s36, s36, s22
	s_addc_u32 s37, s37, s23
	s_cmp_lt_i32 s38, s33
	s_cbranch_scc0 .LBB8_26
.LBB8_42:                               ;   Parent Loop BB8_12 Depth=1
                                        ;     Parent Loop BB8_27 Depth=2
                                        ; =>    This Loop Header: Depth=3
                                        ;         Child Loop BB8_56 Depth 4
                                        ;           Child Loop BB8_71 Depth 5
	s_ashr_i32 s39, s38, 31
	s_add_u32 s6, s38, 1
	s_addc_u32 s7, s39, 0
	s_mul_i32 s27, s6, s15
	s_mul_hi_u32 s29, s6, s14
	s_add_i32 s27, s29, s27
	s_mul_i32 s7, s7, s14
	s_add_i32 s27, s27, s7
	s_mul_i32 s6, s6, s14
	s_add_u32 s6, s6, -1
	s_addc_u32 s7, s27, -1
	s_or_b64 s[40:41], s[6:7], s[16:17]
	s_mov_b32 s27, s41
	s_cmp_lg_u64 s[26:27], 0
	s_cbranch_scc0 .LBB8_44
; %bb.43:                               ;   in Loop: Header=BB8_42 Depth=3
	s_ashr_i32 s40, s17, 31
	s_add_u32 s42, s16, s40
	s_mov_b32 s41, s40
	s_addc_u32 s43, s17, s40
	s_xor_b64 s[42:43], s[42:43], s[40:41]
	v_cvt_f32_u32_e32 v2, s42
	v_cvt_f32_u32_e32 v13, s43
	s_sub_u32 s27, 0, s42
	s_subb_u32 s29, 0, s43
	v_mac_f32_e32 v2, 0x4f800000, v13
	v_rcp_f32_e32 v2, v2
	v_mul_f32_e32 v2, 0x5f7ffffc, v2
	v_mul_f32_e32 v13, 0x2f800000, v2
	v_trunc_f32_e32 v13, v13
	v_mac_f32_e32 v2, 0xcf800000, v13
	v_cvt_u32_f32_e32 v13, v13
	v_cvt_u32_f32_e32 v2, v2
	v_readfirstlane_b32 s46, v13
	v_readfirstlane_b32 s44, v2
	s_mul_i32 s45, s27, s46
	s_mul_hi_u32 s48, s27, s44
	s_mul_i32 s47, s29, s44
	s_add_i32 s45, s48, s45
	s_add_i32 s45, s45, s47
	s_mul_i32 s49, s27, s44
	s_mul_i32 s48, s44, s45
	s_mul_hi_u32 s50, s44, s49
	s_mul_hi_u32 s47, s44, s45
	s_add_u32 s48, s50, s48
	s_addc_u32 s47, 0, s47
	s_mul_hi_u32 s51, s46, s49
	s_mul_i32 s49, s46, s49
	s_add_u32 s48, s48, s49
	s_mul_hi_u32 s50, s46, s45
	s_addc_u32 s47, s47, s51
	s_addc_u32 s48, s50, 0
	s_mul_i32 s45, s46, s45
	s_add_u32 s45, s47, s45
	s_addc_u32 s47, 0, s48
	s_add_u32 s48, s44, s45
	s_cselect_b64 s[44:45], -1, 0
	s_cmp_lg_u64 s[44:45], 0
	s_addc_u32 s46, s46, s47
	s_mul_i32 s44, s27, s46
	s_mul_hi_u32 s45, s27, s48
	s_add_i32 s44, s45, s44
	s_mul_i32 s29, s29, s48
	s_add_i32 s44, s44, s29
	s_mul_i32 s27, s27, s48
	s_mul_hi_u32 s45, s46, s27
	s_mul_i32 s47, s46, s27
	s_mul_i32 s50, s48, s44
	s_mul_hi_u32 s27, s48, s27
	s_mul_hi_u32 s49, s48, s44
	s_add_u32 s27, s27, s50
	s_addc_u32 s49, 0, s49
	s_add_u32 s27, s27, s47
	s_mul_hi_u32 s29, s46, s44
	s_addc_u32 s27, s49, s45
	s_addc_u32 s29, s29, 0
	s_mul_i32 s44, s46, s44
	s_add_u32 s27, s27, s44
	s_addc_u32 s29, 0, s29
	s_add_u32 s27, s48, s27
	s_cselect_b64 s[44:45], -1, 0
	s_cmp_lg_u64 s[44:45], 0
	s_addc_u32 s29, s46, s29
	s_ashr_i32 s44, s7, 31
	s_add_u32 s46, s6, s44
	s_mov_b32 s45, s44
	s_addc_u32 s47, s7, s44
	s_xor_b64 s[46:47], s[46:47], s[44:45]
	s_mul_i32 s48, s46, s29
	s_mul_hi_u32 s49, s46, s27
	s_mul_hi_u32 s7, s46, s29
	s_add_u32 s48, s49, s48
	s_addc_u32 s7, 0, s7
	s_mul_hi_u32 s50, s47, s27
	s_mul_i32 s27, s47, s27
	s_add_u32 s27, s48, s27
	s_mul_hi_u32 s49, s47, s29
	s_addc_u32 s7, s7, s50
	s_addc_u32 s27, s49, 0
	s_mul_i32 s29, s47, s29
	s_add_u32 s7, s7, s29
	s_addc_u32 s27, 0, s27
	s_mul_i32 s29, s42, s27
	s_mul_hi_u32 s48, s42, s7
	s_add_i32 s29, s48, s29
	s_mul_i32 s48, s43, s7
	s_add_i32 s29, s29, s48
	s_sub_i32 s50, s47, s29
	s_mul_i32 s48, s42, s7
	s_sub_u32 s46, s46, s48
	s_cselect_b64 s[48:49], -1, 0
	s_cmp_lg_u64 s[48:49], 0
	s_subb_u32 s52, s50, s43
	s_sub_u32 s53, s46, s42
	s_cselect_b64 s[50:51], -1, 0
	s_cmp_lg_u64 s[50:51], 0
	s_subb_u32 s50, s52, 0
	s_cmp_ge_u32 s50, s43
	s_cselect_b32 s51, -1, 0
	s_cmp_ge_u32 s53, s42
	s_cselect_b32 s52, -1, 0
	s_cmp_eq_u32 s50, s43
	s_cselect_b32 s50, s52, s51
	s_add_u32 s51, s7, 1
	s_addc_u32 s52, s27, 0
	s_add_u32 s53, s7, 2
	s_addc_u32 s67, s27, 0
	s_cmp_lg_u32 s50, 0
	s_cselect_b32 s50, s53, s51
	s_cselect_b32 s51, s67, s52
	s_cmp_lg_u64 s[48:49], 0
	s_subb_u32 s29, s47, s29
	s_cmp_ge_u32 s29, s43
	s_cselect_b32 s47, -1, 0
	s_cmp_ge_u32 s46, s42
	s_cselect_b32 s42, -1, 0
	s_cmp_eq_u32 s29, s43
	s_cselect_b32 s29, s42, s47
	s_cmp_lg_u32 s29, 0
	s_cselect_b32 s43, s51, s27
	s_cselect_b32 s42, s50, s7
	s_xor_b64 s[40:41], s[44:45], s[40:41]
	s_xor_b64 s[42:43], s[42:43], s[40:41]
	s_sub_u32 s40, s42, s40
	s_subb_u32 s41, s43, s41
	s_mov_b64 s[42:43], 0
	s_branch .LBB8_45
.LBB8_44:                               ;   in Loop: Header=BB8_42 Depth=3
	s_mov_b64 s[42:43], -1
                                        ; implicit-def: $sgpr40_sgpr41
.LBB8_45:                               ;   in Loop: Header=BB8_42 Depth=3
	v_cvt_f32_u32_e32 v2, s16
	s_andn2_b64 vcc, exec, s[42:43]
	v_mov_b32_e32 v13, s40
	v_mov_b32_e32 v14, s41
	v_rcp_iflag_f32_e32 v2, v2
	s_cbranch_vccnz .LBB8_47
; %bb.46:                               ;   in Loop: Header=BB8_42 Depth=3
	v_mul_f32_e32 v13, 0x4f7ffffe, v2
	v_cvt_u32_f32_e32 v13, v13
	s_sub_i32 s7, 0, s16
	v_mul_lo_u32 v14, s7, v13
	v_mul_hi_u32 v14, v13, v14
	v_add_u32_e32 v13, v13, v14
	v_mul_hi_u32 v13, s6, v13
	v_mul_lo_u32 v14, v13, s16
	v_add_u32_e32 v15, 1, v13
	v_sub_u32_e32 v14, s6, v14
	v_subrev_u32_e32 v16, s16, v14
	v_cmp_le_u32_e32 vcc, s16, v14
	v_cndmask_b32_e32 v14, v14, v16, vcc
	v_cndmask_b32_e32 v13, v13, v15, vcc
	v_add_u32_e32 v15, 1, v13
	v_cmp_le_u32_e32 vcc, s16, v14
	v_cndmask_b32_e32 v13, v13, v15, vcc
.LBB8_47:                               ;   in Loop: Header=BB8_42 Depth=3
	s_or_b64 s[6:7], s[38:39], s[16:17]
	s_mov_b32 s27, s7
	s_cmp_lg_u64 s[26:27], 0
	s_cbranch_scc0 .LBB8_83
; %bb.48:                               ;   in Loop: Header=BB8_42 Depth=3
	s_ashr_i32 s6, s17, 31
	s_add_u32 s40, s16, s6
	s_mov_b32 s7, s6
	s_addc_u32 s41, s17, s6
	s_xor_b64 s[40:41], s[40:41], s[6:7]
	v_cvt_f32_u32_e32 v14, s40
	v_cvt_f32_u32_e32 v15, s41
	s_sub_u32 s27, 0, s40
	s_subb_u32 s29, 0, s41
	v_mac_f32_e32 v14, 0x4f800000, v15
	v_rcp_f32_e32 v14, v14
	v_mul_f32_e32 v14, 0x5f7ffffc, v14
	v_mul_f32_e32 v15, 0x2f800000, v14
	v_trunc_f32_e32 v15, v15
	v_mac_f32_e32 v14, 0xcf800000, v15
	v_cvt_u32_f32_e32 v15, v15
	v_cvt_u32_f32_e32 v14, v14
	v_readfirstlane_b32 s44, v15
	v_readfirstlane_b32 s42, v14
	s_mul_i32 s43, s27, s44
	s_mul_hi_u32 s46, s27, s42
	s_mul_i32 s45, s29, s42
	s_add_i32 s43, s46, s43
	s_add_i32 s43, s43, s45
	s_mul_i32 s47, s27, s42
	s_mul_i32 s46, s42, s43
	s_mul_hi_u32 s48, s42, s47
	s_mul_hi_u32 s45, s42, s43
	s_add_u32 s46, s48, s46
	s_addc_u32 s45, 0, s45
	s_mul_hi_u32 s49, s44, s47
	s_mul_i32 s47, s44, s47
	s_add_u32 s46, s46, s47
	s_mul_hi_u32 s48, s44, s43
	s_addc_u32 s45, s45, s49
	s_addc_u32 s46, s48, 0
	s_mul_i32 s43, s44, s43
	s_add_u32 s43, s45, s43
	s_addc_u32 s45, 0, s46
	s_add_u32 s46, s42, s43
	s_cselect_b64 s[42:43], -1, 0
	s_cmp_lg_u64 s[42:43], 0
	s_addc_u32 s44, s44, s45
	s_mul_i32 s42, s27, s44
	s_mul_hi_u32 s43, s27, s46
	s_add_i32 s42, s43, s42
	s_mul_i32 s29, s29, s46
	s_add_i32 s42, s42, s29
	s_mul_i32 s27, s27, s46
	s_mul_hi_u32 s43, s44, s27
	s_mul_i32 s45, s44, s27
	s_mul_i32 s48, s46, s42
	s_mul_hi_u32 s27, s46, s27
	s_mul_hi_u32 s47, s46, s42
	s_add_u32 s27, s27, s48
	s_addc_u32 s47, 0, s47
	s_add_u32 s27, s27, s45
	s_mul_hi_u32 s29, s44, s42
	s_addc_u32 s27, s47, s43
	s_addc_u32 s29, s29, 0
	s_mul_i32 s42, s44, s42
	s_add_u32 s27, s27, s42
	s_addc_u32 s29, 0, s29
	s_add_u32 s27, s46, s27
	s_cselect_b64 s[42:43], -1, 0
	s_cmp_lg_u64 s[42:43], 0
	s_addc_u32 s29, s44, s29
	s_ashr_i32 s42, s39, 31
	s_add_u32 s44, s38, s42
	s_mov_b32 s43, s42
	s_addc_u32 s45, s39, s42
	s_xor_b64 s[44:45], s[44:45], s[42:43]
	s_mul_i32 s47, s44, s29
	s_mul_hi_u32 s48, s44, s27
	s_mul_hi_u32 s46, s44, s29
	s_add_u32 s47, s48, s47
	s_addc_u32 s46, 0, s46
	s_mul_hi_u32 s49, s45, s27
	s_mul_i32 s27, s45, s27
	s_add_u32 s27, s47, s27
	s_mul_hi_u32 s48, s45, s29
	s_addc_u32 s27, s46, s49
	s_addc_u32 s46, s48, 0
	s_mul_i32 s29, s45, s29
	s_add_u32 s27, s27, s29
	s_addc_u32 s29, 0, s46
	s_mul_i32 s46, s40, s29
	s_mul_hi_u32 s47, s40, s27
	s_add_i32 s46, s47, s46
	s_mul_i32 s47, s41, s27
	s_add_i32 s50, s46, s47
	s_sub_i32 s48, s45, s50
	s_mul_i32 s46, s40, s27
	s_sub_u32 s44, s44, s46
	s_cselect_b64 s[46:47], -1, 0
	s_cmp_lg_u64 s[46:47], 0
	s_subb_u32 s51, s48, s41
	s_sub_u32 s52, s44, s40
	s_cselect_b64 s[48:49], -1, 0
	s_cmp_lg_u64 s[48:49], 0
	s_subb_u32 s48, s51, 0
	s_cmp_ge_u32 s48, s41
	s_cselect_b32 s49, -1, 0
	s_cmp_ge_u32 s52, s40
	s_cselect_b32 s51, -1, 0
	s_cmp_eq_u32 s48, s41
	s_cselect_b32 s48, s51, s49
	s_add_u32 s49, s27, 1
	s_addc_u32 s51, s29, 0
	s_add_u32 s52, s27, 2
	s_addc_u32 s53, s29, 0
	s_cmp_lg_u32 s48, 0
	s_cselect_b32 s48, s52, s49
	s_cselect_b32 s49, s53, s51
	s_cmp_lg_u64 s[46:47], 0
	s_subb_u32 s45, s45, s50
	s_cmp_ge_u32 s45, s41
	s_cselect_b32 s46, -1, 0
	s_cmp_ge_u32 s44, s40
	s_cselect_b32 s40, -1, 0
	s_cmp_eq_u32 s45, s41
	s_cselect_b32 s40, s40, s46
	s_cmp_lg_u32 s40, 0
	s_cselect_b32 s41, s49, s29
	s_cselect_b32 s40, s48, s27
	s_xor_b64 s[6:7], s[42:43], s[6:7]
	s_xor_b64 s[40:41], s[40:41], s[6:7]
	s_sub_u32 s6, s40, s6
	s_subb_u32 s7, s41, s7
	s_cbranch_execnz .LBB8_50
.LBB8_49:                               ;   in Loop: Header=BB8_42 Depth=3
	v_mul_f32_e32 v14, 0x4f7ffffe, v2
	v_cvt_u32_f32_e32 v14, v14
	s_sub_i32 s6, 0, s16
	v_readfirstlane_b32 s7, v14
	s_mul_i32 s6, s6, s7
	s_mul_hi_u32 s6, s7, s6
	s_add_i32 s7, s7, s6
	s_mul_hi_u32 s6, s38, s7
	s_mul_i32 s27, s6, s16
	s_sub_i32 s27, s38, s27
	s_add_i32 s7, s6, 1
	s_sub_i32 s29, s27, s16
	s_cmp_ge_u32 s27, s16
	s_cselect_b32 s6, s7, s6
	s_cselect_b32 s27, s29, s27
	s_add_i32 s7, s6, 1
	s_cmp_ge_u32 s27, s16
	s_cselect_b32 s6, s7, s6
	s_mov_b32 s7, s26
.LBB8_50:                               ;   in Loop: Header=BB8_42 Depth=3
	s_mul_i32 s27, s6, s17
	s_mul_hi_u32 s29, s6, s16
	s_add_i32 s27, s29, s27
	s_mul_i32 s7, s7, s16
	s_add_i32 s27, s27, s7
	s_mul_i32 s7, s6, s16
	s_sub_u32 s7, s38, s7
	s_subb_u32 s27, s39, s27
	s_mul_i32 s29, s7, s15
	s_mul_hi_u32 s39, s7, s14
	s_add_i32 s29, s39, s29
	s_mul_i32 s27, s27, s14
	s_add_i32 s41, s29, s27
	s_mul_i32 s40, s7, s14
	s_or_b64 s[42:43], s[40:41], s[16:17]
	s_mov_b32 s27, s43
	s_cmp_lg_u64 s[26:27], 0
	s_cbranch_scc0 .LBB8_84
; %bb.51:                               ;   in Loop: Header=BB8_42 Depth=3
	s_ashr_i32 s42, s17, 31
	s_add_u32 s44, s16, s42
	s_mov_b32 s43, s42
	s_addc_u32 s45, s17, s42
	s_xor_b64 s[44:45], s[44:45], s[42:43]
	v_cvt_f32_u32_e32 v14, s44
	v_cvt_f32_u32_e32 v15, s45
	s_sub_u32 s7, 0, s44
	s_subb_u32 s27, 0, s45
	v_mac_f32_e32 v14, 0x4f800000, v15
	v_rcp_f32_e32 v14, v14
	v_mul_f32_e32 v14, 0x5f7ffffc, v14
	v_mul_f32_e32 v15, 0x2f800000, v14
	v_trunc_f32_e32 v15, v15
	v_mac_f32_e32 v14, 0xcf800000, v15
	v_cvt_u32_f32_e32 v15, v15
	v_cvt_u32_f32_e32 v14, v14
	v_readfirstlane_b32 s29, v15
	v_readfirstlane_b32 s39, v14
	s_mul_i32 s46, s7, s29
	s_mul_hi_u32 s48, s7, s39
	s_mul_i32 s47, s27, s39
	s_add_i32 s46, s48, s46
	s_add_i32 s46, s46, s47
	s_mul_i32 s49, s7, s39
	s_mul_i32 s48, s39, s46
	s_mul_hi_u32 s50, s39, s49
	s_mul_hi_u32 s47, s39, s46
	s_add_u32 s48, s50, s48
	s_addc_u32 s47, 0, s47
	s_mul_hi_u32 s51, s29, s49
	s_mul_i32 s49, s29, s49
	s_add_u32 s48, s48, s49
	s_mul_hi_u32 s50, s29, s46
	s_addc_u32 s47, s47, s51
	s_addc_u32 s48, s50, 0
	s_mul_i32 s46, s29, s46
	s_add_u32 s46, s47, s46
	s_addc_u32 s48, 0, s48
	s_add_u32 s39, s39, s46
	s_cselect_b64 s[46:47], -1, 0
	s_cmp_lg_u64 s[46:47], 0
	s_addc_u32 s29, s29, s48
	s_mul_i32 s46, s7, s29
	s_mul_hi_u32 s47, s7, s39
	s_add_i32 s46, s47, s46
	s_mul_i32 s27, s27, s39
	s_add_i32 s46, s46, s27
	s_mul_i32 s7, s7, s39
	s_mul_hi_u32 s47, s29, s7
	s_mul_i32 s48, s29, s7
	s_mul_i32 s50, s39, s46
	s_mul_hi_u32 s7, s39, s7
	s_mul_hi_u32 s49, s39, s46
	s_add_u32 s7, s7, s50
	s_addc_u32 s49, 0, s49
	s_add_u32 s7, s7, s48
	s_mul_hi_u32 s27, s29, s46
	s_addc_u32 s7, s49, s47
	s_addc_u32 s27, s27, 0
	s_mul_i32 s46, s29, s46
	s_add_u32 s7, s7, s46
	s_addc_u32 s27, 0, s27
	s_add_u32 s7, s39, s7
	s_cselect_b64 s[46:47], -1, 0
	s_cmp_lg_u64 s[46:47], 0
	s_addc_u32 s27, s29, s27
	s_ashr_i32 s46, s41, 31
	s_add_u32 s48, s40, s46
	s_mov_b32 s47, s46
	s_addc_u32 s49, s41, s46
	s_xor_b64 s[48:49], s[48:49], s[46:47]
	s_mul_i32 s39, s48, s27
	s_mul_hi_u32 s41, s48, s7
	s_mul_hi_u32 s29, s48, s27
	s_add_u32 s39, s41, s39
	s_addc_u32 s29, 0, s29
	s_mul_hi_u32 s50, s49, s7
	s_mul_i32 s7, s49, s7
	s_add_u32 s7, s39, s7
	s_mul_hi_u32 s41, s49, s27
	s_addc_u32 s7, s29, s50
	s_addc_u32 s29, s41, 0
	s_mul_i32 s27, s49, s27
	s_add_u32 s7, s7, s27
	s_addc_u32 s27, 0, s29
	s_mul_i32 s29, s44, s27
	s_mul_hi_u32 s39, s44, s7
	s_add_i32 s29, s39, s29
	s_mul_i32 s39, s45, s7
	s_add_i32 s29, s29, s39
	s_sub_i32 s39, s49, s29
	s_mul_i32 s41, s44, s7
	s_sub_u32 s41, s48, s41
	s_cselect_b64 s[50:51], -1, 0
	s_cmp_lg_u64 s[50:51], 0
	s_subb_u32 s39, s39, s45
	s_sub_u32 s48, s41, s44
	s_cselect_b64 s[52:53], -1, 0
	s_cmp_lg_u64 s[52:53], 0
	s_subb_u32 s39, s39, 0
	s_cmp_ge_u32 s39, s45
	s_cselect_b32 s52, -1, 0
	s_cmp_ge_u32 s48, s44
	s_cselect_b32 s48, -1, 0
	s_cmp_eq_u32 s39, s45
	s_cselect_b32 s39, s48, s52
	s_add_u32 s48, s7, 1
	s_addc_u32 s52, s27, 0
	s_add_u32 s53, s7, 2
	s_addc_u32 s67, s27, 0
	s_cmp_lg_u32 s39, 0
	s_cselect_b32 s39, s53, s48
	s_cselect_b32 s48, s67, s52
	s_cmp_lg_u64 s[50:51], 0
	s_subb_u32 s29, s49, s29
	s_cmp_ge_u32 s29, s45
	s_cselect_b32 s49, -1, 0
	s_cmp_ge_u32 s41, s44
	s_cselect_b32 s41, -1, 0
	s_cmp_eq_u32 s29, s45
	s_cselect_b32 s29, s41, s49
	s_cmp_lg_u32 s29, 0
	s_cselect_b32 s45, s48, s27
	s_cselect_b32 s44, s39, s7
	s_xor_b64 s[42:43], s[46:47], s[42:43]
	s_xor_b64 s[44:45], s[44:45], s[42:43]
	s_sub_u32 s42, s44, s42
	s_subb_u32 s43, s45, s43
	v_mov_b32_e32 v14, s42
	v_mov_b32_e32 v15, s43
	s_cbranch_execnz .LBB8_53
.LBB8_52:                               ;   in Loop: Header=BB8_42 Depth=3
	v_mul_f32_e32 v2, 0x4f7ffffe, v2
	v_cvt_u32_f32_e32 v2, v2
	s_sub_i32 s7, 0, s16
	v_mul_lo_u32 v14, s7, v2
	v_mul_hi_u32 v14, v2, v14
	v_add_u32_e32 v2, v2, v14
	v_mul_hi_u32 v2, s40, v2
	v_mul_lo_u32 v14, v2, s16
	v_add_u32_e32 v15, 1, v2
	v_sub_u32_e32 v14, s40, v14
	v_subrev_u32_e32 v16, s16, v14
	v_cmp_le_u32_e32 vcc, s16, v14
	v_cndmask_b32_e32 v14, v14, v16, vcc
	v_cndmask_b32_e32 v2, v2, v15, vcc
	v_add_u32_e32 v15, 1, v2
	v_cmp_le_u32_e32 vcc, s16, v14
	v_cndmask_b32_e32 v14, v2, v15, vcc
.LBB8_53:                               ;   in Loop: Header=BB8_42 Depth=3
	s_and_saveexec_b64 s[40:41], s[2:3]
	s_cbranch_execz .LBB8_41
; %bb.54:                               ;   in Loop: Header=BB8_42 Depth=3
	s_mul_i32 s6, s6, s14
	v_add_u32_e32 v2, s6, v14
	v_sub_u32_e32 v2, v13, v2
	v_add_u32_e32 v36, 1, v2
	s_mov_b64 s[42:43], 0
	v_mov_b32_e32 v13, v12
	v_mov_b32_e32 v37, v3
	s_branch .LBB8_56
.LBB8_55:                               ;   in Loop: Header=BB8_56 Depth=4
	s_or_b64 exec, exec, s[44:45]
	v_add_u32_e32 v37, 1, v37
	v_cmp_ge_i32_e32 vcc, v37, v32
	s_or_b64 s[42:43], vcc, s[42:43]
	v_add_u32_e32 v13, s13, v13
	s_andn2_b64 exec, exec, s[42:43]
	s_cbranch_execz .LBB8_41
.LBB8_56:                               ;   Parent Loop BB8_12 Depth=1
                                        ;     Parent Loop BB8_27 Depth=2
                                        ;       Parent Loop BB8_42 Depth=3
                                        ; =>      This Loop Header: Depth=4
                                        ;           Child Loop BB8_71 Depth 5
	s_and_saveexec_b64 s[44:45], s[4:5]
	s_cbranch_execz .LBB8_55
; %bb.57:                               ;   in Loop: Header=BB8_56 Depth=4
	v_ashrrev_i32_e32 v16, 31, v37
	v_add_co_u32_e32 v2, vcc, 1, v37
	v_addc_co_u32_e32 v14, vcc, 0, v16, vcc
	v_mul_lo_u32 v17, v2, s54
	v_mul_lo_u32 v18, v14, s55
	v_mad_u64_u32 v[14:15], s[6:7], v2, s55, -1
	v_add3_u32 v15, v18, v15, v17
	v_or_b32_e32 v2, s60, v15
	v_cmp_ne_u64_e32 vcc, 0, v[1:2]
                                        ; implicit-def: $vgpr17_vgpr18
	s_and_saveexec_b64 s[6:7], vcc
	s_xor_b64 s[46:47], exec, s[6:7]
	s_cbranch_execz .LBB8_59
; %bb.58:                               ;   in Loop: Header=BB8_56 Depth=4
	s_ashr_i32 s48, s60, 31
	s_add_u32 s6, s65, s48
	s_mov_b32 s49, s48
	s_addc_u32 s7, s60, s48
	s_xor_b64 s[50:51], s[6:7], s[48:49]
	v_cvt_f32_u32_e32 v2, s50
	v_cvt_f32_u32_e32 v17, s51
	s_sub_u32 s27, 0, s50
	s_subb_u32 s29, 0, s51
	v_mac_f32_e32 v2, 0x4f800000, v17
	v_rcp_f32_e32 v2, v2
	v_mul_f32_e32 v2, 0x5f7ffffc, v2
	v_mul_f32_e32 v17, 0x2f800000, v2
	v_trunc_f32_e32 v17, v17
	v_mac_f32_e32 v2, 0xcf800000, v17
	v_cvt_u32_f32_e32 v17, v17
	v_cvt_u32_f32_e32 v2, v2
	v_readfirstlane_b32 s39, v17
	v_readfirstlane_b32 s6, v2
	s_mul_i32 s7, s27, s39
	s_mul_hi_u32 s52, s27, s6
	s_mul_i32 s49, s29, s6
	s_add_i32 s7, s52, s7
	s_add_i32 s7, s7, s49
	s_mul_i32 s53, s27, s6
	s_mul_i32 s52, s6, s7
	s_mul_hi_u32 s67, s6, s53
	s_mul_hi_u32 s49, s6, s7
	s_add_u32 s52, s67, s52
	s_addc_u32 s49, 0, s49
	s_mul_hi_u32 s68, s39, s53
	s_mul_i32 s53, s39, s53
	s_add_u32 s52, s52, s53
	s_mul_hi_u32 s67, s39, s7
	s_addc_u32 s49, s49, s68
	s_addc_u32 s52, s67, 0
	s_mul_i32 s7, s39, s7
	s_add_u32 s7, s49, s7
	s_addc_u32 s49, 0, s52
	s_add_u32 s52, s6, s7
	s_cselect_b64 s[6:7], -1, 0
	s_cmp_lg_u64 s[6:7], 0
	s_addc_u32 s39, s39, s49
	s_mul_i32 s6, s27, s39
	s_mul_hi_u32 s7, s27, s52
	s_add_i32 s6, s7, s6
	s_mul_i32 s29, s29, s52
	s_add_i32 s6, s6, s29
	s_mul_i32 s27, s27, s52
	s_mul_hi_u32 s29, s39, s27
	s_mul_i32 s49, s39, s27
	s_mul_i32 s67, s52, s6
	s_mul_hi_u32 s27, s52, s27
	s_mul_hi_u32 s53, s52, s6
	s_add_u32 s27, s27, s67
	s_addc_u32 s53, 0, s53
	s_add_u32 s27, s27, s49
	s_mul_hi_u32 s7, s39, s6
	s_addc_u32 s27, s53, s29
	s_addc_u32 s7, s7, 0
	s_mul_i32 s6, s39, s6
	s_add_u32 s6, s27, s6
	s_addc_u32 s27, 0, s7
	s_add_u32 s29, s52, s6
	s_cselect_b64 s[6:7], -1, 0
	v_ashrrev_i32_e32 v2, 31, v15
	s_cmp_lg_u64 s[6:7], 0
	v_add_co_u32_e32 v14, vcc, v14, v2
	s_addc_u32 s27, s39, s27
	v_xor_b32_e32 v19, v14, v2
	v_addc_co_u32_e32 v17, vcc, v15, v2, vcc
	v_mad_u64_u32 v[14:15], s[6:7], v19, s27, 0
	v_mul_hi_u32 v18, v19, s29
	v_xor_b32_e32 v20, v17, v2
	v_xor_b32_e32 v2, s48, v2
	v_add_co_u32_e32 v21, vcc, v18, v14
	v_addc_co_u32_e32 v22, vcc, 0, v15, vcc
	v_mad_u64_u32 v[14:15], s[6:7], v20, s29, 0
	v_mad_u64_u32 v[17:18], s[6:7], v20, s27, 0
	v_add_co_u32_e32 v14, vcc, v21, v14
	v_addc_co_u32_e32 v14, vcc, v22, v15, vcc
	v_addc_co_u32_e32 v15, vcc, 0, v18, vcc
	v_add_co_u32_e32 v17, vcc, v14, v17
	v_addc_co_u32_e32 v14, vcc, 0, v15, vcc
	v_mul_lo_u32 v18, s51, v17
	v_mul_lo_u32 v21, s50, v14
	v_mad_u64_u32 v[14:15], s[6:7], s50, v17, 0
	v_add3_u32 v15, v15, v21, v18
	v_sub_u32_e32 v18, v20, v15
	v_mov_b32_e32 v21, s51
	v_sub_co_u32_e32 v14, vcc, v19, v14
	v_subb_co_u32_e64 v18, s[6:7], v18, v21, vcc
	v_subrev_co_u32_e64 v19, s[6:7], s50, v14
	v_subbrev_co_u32_e64 v18, s[6:7], 0, v18, s[6:7]
	v_cmp_le_u32_e64 s[6:7], s51, v18
	v_subb_co_u32_e32 v15, vcc, v20, v15, vcc
	v_cndmask_b32_e64 v21, 0, -1, s[6:7]
	v_cmp_le_u32_e64 s[6:7], s50, v19
	v_cmp_le_u32_e32 vcc, s51, v15
	v_cndmask_b32_e64 v19, 0, -1, s[6:7]
	v_cmp_eq_u32_e64 s[6:7], s51, v18
	v_cndmask_b32_e64 v20, 0, -1, vcc
	v_cmp_le_u32_e32 vcc, s50, v14
	v_cndmask_b32_e64 v18, v21, v19, s[6:7]
	v_cndmask_b32_e64 v14, 0, -1, vcc
	v_cmp_eq_u32_e32 vcc, s51, v15
	v_add_co_u32_e64 v19, s[6:7], 2, v17
	v_add_co_u32_e64 v21, s[6:7], 1, v17
	v_cndmask_b32_e32 v14, v20, v14, vcc
	v_cmp_ne_u32_e32 vcc, 0, v18
	v_cndmask_b32_e32 v15, v21, v19, vcc
	v_cmp_ne_u32_e32 vcc, 0, v14
	v_cndmask_b32_e32 v14, v17, v15, vcc
	v_xor_b32_e32 v14, v14, v2
	v_sub_co_u32_e32 v17, vcc, v14, v2
                                        ; implicit-def: $vgpr14_vgpr15
.LBB8_59:                               ;   in Loop: Header=BB8_56 Depth=4
	s_or_saveexec_b64 s[46:47], s[46:47]
	v_cvt_f32_u32_e32 v2, s65
	v_rcp_iflag_f32_e32 v20, v2
	s_xor_b64 exec, exec, s[46:47]
	s_cbranch_execz .LBB8_61
; %bb.60:                               ;   in Loop: Header=BB8_56 Depth=4
	v_mul_f32_e32 v2, 0x4f7ffffe, v20
	v_cvt_u32_f32_e32 v2, v2
	s_sub_i32 s6, 0, s65
	v_mul_lo_u32 v15, s6, v2
	v_mul_hi_u32 v15, v2, v15
	v_add_u32_e32 v2, v2, v15
	v_mul_hi_u32 v2, v14, v2
	v_mul_lo_u32 v15, v2, s65
	v_sub_u32_e32 v14, v14, v15
	v_cmp_le_u32_e32 vcc, s65, v14
	v_subrev_u32_e32 v15, s65, v14
	v_cndmask_b32_e32 v14, v14, v15, vcc
	v_cmp_le_u32_e64 s[6:7], s65, v14
	v_add_u32_e32 v14, 1, v2
	v_cndmask_b32_e32 v2, v2, v14, vcc
	v_add_u32_e32 v14, 1, v2
	v_cndmask_b32_e64 v17, v2, v14, s[6:7]
.LBB8_61:                               ;   in Loop: Header=BB8_56 Depth=4
	s_or_b64 exec, exec, s[46:47]
	v_or_b32_e32 v2, s60, v16
	v_cmp_ne_u64_e32 vcc, 0, v[1:2]
                                        ; implicit-def: $vgpr14_vgpr15
	s_and_saveexec_b64 s[6:7], vcc
	s_xor_b64 s[46:47], exec, s[6:7]
	s_cbranch_execz .LBB8_63
; %bb.62:                               ;   in Loop: Header=BB8_56 Depth=4
	s_ashr_i32 s48, s60, 31
	s_add_u32 s6, s65, s48
	s_mov_b32 s49, s48
	s_addc_u32 s7, s60, s48
	s_xor_b64 s[50:51], s[6:7], s[48:49]
	v_cvt_f32_u32_e32 v2, s50
	v_cvt_f32_u32_e32 v14, s51
	s_sub_u32 s27, 0, s50
	s_subb_u32 s29, 0, s51
	v_mac_f32_e32 v2, 0x4f800000, v14
	v_rcp_f32_e32 v2, v2
	v_mul_f32_e32 v2, 0x5f7ffffc, v2
	v_mul_f32_e32 v14, 0x2f800000, v2
	v_trunc_f32_e32 v14, v14
	v_mac_f32_e32 v2, 0xcf800000, v14
	v_cvt_u32_f32_e32 v14, v14
	v_cvt_u32_f32_e32 v2, v2
	v_readfirstlane_b32 s39, v14
	v_readfirstlane_b32 s6, v2
	s_mul_i32 s7, s27, s39
	s_mul_hi_u32 s52, s27, s6
	s_mul_i32 s49, s29, s6
	s_add_i32 s7, s52, s7
	s_add_i32 s7, s7, s49
	s_mul_i32 s53, s27, s6
	s_mul_i32 s52, s6, s7
	s_mul_hi_u32 s67, s6, s53
	s_mul_hi_u32 s49, s6, s7
	s_add_u32 s52, s67, s52
	s_addc_u32 s49, 0, s49
	s_mul_hi_u32 s68, s39, s53
	s_mul_i32 s53, s39, s53
	s_add_u32 s52, s52, s53
	s_mul_hi_u32 s67, s39, s7
	s_addc_u32 s49, s49, s68
	s_addc_u32 s52, s67, 0
	s_mul_i32 s7, s39, s7
	s_add_u32 s7, s49, s7
	s_addc_u32 s49, 0, s52
	s_add_u32 s52, s6, s7
	s_cselect_b64 s[6:7], -1, 0
	s_cmp_lg_u64 s[6:7], 0
	s_addc_u32 s39, s39, s49
	s_mul_i32 s6, s27, s39
	s_mul_hi_u32 s7, s27, s52
	s_add_i32 s6, s7, s6
	s_mul_i32 s29, s29, s52
	s_add_i32 s6, s6, s29
	s_mul_i32 s27, s27, s52
	s_mul_hi_u32 s29, s39, s27
	s_mul_i32 s49, s39, s27
	s_mul_i32 s67, s52, s6
	s_mul_hi_u32 s27, s52, s27
	s_mul_hi_u32 s53, s52, s6
	s_add_u32 s27, s27, s67
	s_addc_u32 s53, 0, s53
	s_add_u32 s27, s27, s49
	s_mul_hi_u32 s7, s39, s6
	s_addc_u32 s27, s53, s29
	s_addc_u32 s7, s7, 0
	s_mul_i32 s6, s39, s6
	s_add_u32 s6, s27, s6
	s_addc_u32 s27, 0, s7
	s_add_u32 s29, s52, s6
	s_cselect_b64 s[6:7], -1, 0
	v_ashrrev_i32_e32 v2, 31, v16
	s_cmp_lg_u64 s[6:7], 0
	v_add_co_u32_e32 v14, vcc, v37, v2
	s_addc_u32 s27, s39, s27
	v_xor_b32_e32 v21, v14, v2
	v_mad_u64_u32 v[14:15], s[6:7], v21, s27, 0
	v_mul_hi_u32 v19, v21, s29
	v_addc_co_u32_e32 v18, vcc, v16, v2, vcc
	v_xor_b32_e32 v22, v18, v2
	v_add_co_u32_e32 v23, vcc, v19, v14
	v_addc_co_u32_e32 v24, vcc, 0, v15, vcc
	v_mad_u64_u32 v[14:15], s[6:7], v22, s29, 0
	v_mad_u64_u32 v[18:19], s[6:7], v22, s27, 0
	v_add_co_u32_e32 v14, vcc, v23, v14
	v_addc_co_u32_e32 v14, vcc, v24, v15, vcc
	v_addc_co_u32_e32 v15, vcc, 0, v19, vcc
	v_add_co_u32_e32 v18, vcc, v14, v18
	v_addc_co_u32_e32 v19, vcc, 0, v15, vcc
	v_mul_lo_u32 v23, s51, v18
	v_mul_lo_u32 v24, s50, v19
	v_mad_u64_u32 v[14:15], s[6:7], s50, v18, 0
	v_xor_b32_e32 v2, s48, v2
	v_add3_u32 v15, v15, v24, v23
	v_sub_u32_e32 v23, v22, v15
	v_mov_b32_e32 v24, s51
	v_sub_co_u32_e32 v14, vcc, v21, v14
	v_subb_co_u32_e64 v21, s[6:7], v23, v24, vcc
	v_subrev_co_u32_e64 v23, s[6:7], s50, v14
	v_subbrev_co_u32_e64 v21, s[6:7], 0, v21, s[6:7]
	v_cmp_le_u32_e64 s[6:7], s51, v21
	v_cndmask_b32_e64 v24, 0, -1, s[6:7]
	v_cmp_le_u32_e64 s[6:7], s50, v23
	v_cndmask_b32_e64 v23, 0, -1, s[6:7]
	v_cmp_eq_u32_e64 s[6:7], s51, v21
	v_cndmask_b32_e64 v21, v24, v23, s[6:7]
	v_add_co_u32_e64 v23, s[6:7], 2, v18
	v_subb_co_u32_e32 v15, vcc, v22, v15, vcc
	v_addc_co_u32_e64 v24, s[6:7], 0, v19, s[6:7]
	v_cmp_le_u32_e32 vcc, s51, v15
	v_add_co_u32_e64 v25, s[6:7], 1, v18
	v_cndmask_b32_e64 v22, 0, -1, vcc
	v_cmp_le_u32_e32 vcc, s50, v14
	v_addc_co_u32_e64 v26, s[6:7], 0, v19, s[6:7]
	v_cndmask_b32_e64 v14, 0, -1, vcc
	v_cmp_eq_u32_e32 vcc, s51, v15
	v_cmp_ne_u32_e64 s[6:7], 0, v21
	v_cndmask_b32_e32 v14, v22, v14, vcc
	v_cndmask_b32_e64 v21, v26, v24, s[6:7]
	v_cmp_ne_u32_e32 vcc, 0, v14
	v_cndmask_b32_e64 v15, v25, v23, s[6:7]
	v_cndmask_b32_e32 v14, v19, v21, vcc
	v_cndmask_b32_e32 v15, v18, v15, vcc
	v_xor_b32_e32 v18, v14, v2
	v_xor_b32_e32 v14, v15, v2
	v_sub_co_u32_e32 v14, vcc, v14, v2
	v_subb_co_u32_e32 v15, vcc, v18, v2, vcc
.LBB8_63:                               ;   in Loop: Header=BB8_56 Depth=4
	s_andn2_saveexec_b64 s[6:7], s[46:47]
	s_cbranch_execz .LBB8_65
; %bb.64:                               ;   in Loop: Header=BB8_56 Depth=4
	v_mul_f32_e32 v2, 0x4f7ffffe, v20
	v_cvt_u32_f32_e32 v2, v2
	s_sub_i32 s27, 0, s65
	v_mul_lo_u32 v14, s27, v2
	v_mul_hi_u32 v14, v2, v14
	v_add_u32_e32 v2, v2, v14
	v_mul_hi_u32 v2, v37, v2
	v_mul_lo_u32 v14, v2, s65
	v_add_u32_e32 v15, 1, v2
	v_sub_u32_e32 v14, v37, v14
	v_subrev_u32_e32 v18, s65, v14
	v_cmp_le_u32_e32 vcc, s65, v14
	v_cndmask_b32_e32 v14, v14, v18, vcc
	v_cndmask_b32_e32 v2, v2, v15, vcc
	v_add_u32_e32 v15, 1, v2
	v_cmp_le_u32_e32 vcc, s65, v14
	v_cndmask_b32_e32 v14, v2, v15, vcc
	v_mov_b32_e32 v15, v1
.LBB8_65:                               ;   in Loop: Header=BB8_56 Depth=4
	s_or_b64 exec, exec, s[6:7]
	v_mul_lo_u32 v2, v15, s65
	v_mul_lo_u32 v15, v14, s60
	v_mad_u64_u32 v[18:19], s[6:7], v14, s65, 0
	v_add3_u32 v2, v19, v15, v2
	v_sub_co_u32_e32 v15, vcc, v37, v18
	v_subb_co_u32_e32 v2, vcc, v16, v2, vcc
	v_mul_lo_u32 v2, v2, s55
	v_mul_lo_u32 v18, v15, s54
	v_mad_u64_u32 v[15:16], s[6:7], v15, s55, 0
	v_add3_u32 v16, v16, v18, v2
	v_or_b32_e32 v2, s60, v16
	v_cmp_ne_u64_e32 vcc, 0, v[1:2]
                                        ; implicit-def: $vgpr18_vgpr19
	s_and_saveexec_b64 s[6:7], vcc
	s_xor_b64 s[46:47], exec, s[6:7]
	s_cbranch_execz .LBB8_67
; %bb.66:                               ;   in Loop: Header=BB8_56 Depth=4
	s_ashr_i32 s48, s60, 31
	s_add_u32 s6, s65, s48
	s_mov_b32 s49, s48
	s_addc_u32 s7, s60, s48
	s_xor_b64 s[50:51], s[6:7], s[48:49]
	v_cvt_f32_u32_e32 v2, s50
	v_cvt_f32_u32_e32 v18, s51
	s_sub_u32 s27, 0, s50
	s_subb_u32 s29, 0, s51
	v_mac_f32_e32 v2, 0x4f800000, v18
	v_rcp_f32_e32 v2, v2
	v_mul_f32_e32 v2, 0x5f7ffffc, v2
	v_mul_f32_e32 v18, 0x2f800000, v2
	v_trunc_f32_e32 v18, v18
	v_mac_f32_e32 v2, 0xcf800000, v18
	v_cvt_u32_f32_e32 v18, v18
	v_cvt_u32_f32_e32 v2, v2
	v_readfirstlane_b32 s39, v18
	v_readfirstlane_b32 s6, v2
	s_mul_i32 s7, s27, s39
	s_mul_hi_u32 s52, s27, s6
	s_mul_i32 s49, s29, s6
	s_add_i32 s7, s52, s7
	s_add_i32 s7, s7, s49
	s_mul_i32 s53, s27, s6
	s_mul_i32 s52, s6, s7
	s_mul_hi_u32 s67, s6, s53
	s_mul_hi_u32 s49, s6, s7
	s_add_u32 s52, s67, s52
	s_addc_u32 s49, 0, s49
	s_mul_hi_u32 s68, s39, s53
	s_mul_i32 s53, s39, s53
	s_add_u32 s52, s52, s53
	s_mul_hi_u32 s67, s39, s7
	s_addc_u32 s49, s49, s68
	s_addc_u32 s52, s67, 0
	s_mul_i32 s7, s39, s7
	s_add_u32 s7, s49, s7
	s_addc_u32 s49, 0, s52
	s_add_u32 s52, s6, s7
	s_cselect_b64 s[6:7], -1, 0
	s_cmp_lg_u64 s[6:7], 0
	s_addc_u32 s39, s39, s49
	s_mul_i32 s6, s27, s39
	s_mul_hi_u32 s7, s27, s52
	s_add_i32 s6, s7, s6
	s_mul_i32 s29, s29, s52
	s_add_i32 s6, s6, s29
	s_mul_i32 s27, s27, s52
	s_mul_hi_u32 s29, s39, s27
	s_mul_i32 s49, s39, s27
	s_mul_i32 s67, s52, s6
	s_mul_hi_u32 s27, s52, s27
	s_mul_hi_u32 s53, s52, s6
	s_add_u32 s27, s27, s67
	s_addc_u32 s53, 0, s53
	s_add_u32 s27, s27, s49
	s_mul_hi_u32 s7, s39, s6
	s_addc_u32 s27, s53, s29
	s_addc_u32 s7, s7, 0
	s_mul_i32 s6, s39, s6
	s_add_u32 s6, s27, s6
	s_addc_u32 s27, 0, s7
	s_add_u32 s29, s52, s6
	s_cselect_b64 s[6:7], -1, 0
	v_ashrrev_i32_e32 v2, 31, v16
	s_cmp_lg_u64 s[6:7], 0
	v_add_co_u32_e32 v15, vcc, v15, v2
	s_addc_u32 s27, s39, s27
	v_xor_b32_e32 v20, v15, v2
	v_addc_co_u32_e32 v18, vcc, v16, v2, vcc
	v_mad_u64_u32 v[15:16], s[6:7], v20, s27, 0
	v_mul_hi_u32 v19, v20, s29
	v_xor_b32_e32 v21, v18, v2
	v_xor_b32_e32 v2, s48, v2
	v_add_co_u32_e32 v22, vcc, v19, v15
	v_addc_co_u32_e32 v23, vcc, 0, v16, vcc
	v_mad_u64_u32 v[15:16], s[6:7], v21, s29, 0
	v_mad_u64_u32 v[18:19], s[6:7], v21, s27, 0
	v_add_co_u32_e32 v15, vcc, v22, v15
	v_addc_co_u32_e32 v15, vcc, v23, v16, vcc
	v_addc_co_u32_e32 v16, vcc, 0, v19, vcc
	v_add_co_u32_e32 v18, vcc, v15, v18
	v_addc_co_u32_e32 v15, vcc, 0, v16, vcc
	v_mul_lo_u32 v19, s51, v18
	v_mul_lo_u32 v22, s50, v15
	v_mad_u64_u32 v[15:16], s[6:7], s50, v18, 0
	v_add3_u32 v16, v16, v22, v19
	v_sub_u32_e32 v19, v21, v16
	v_mov_b32_e32 v22, s51
	v_sub_co_u32_e32 v15, vcc, v20, v15
	v_subb_co_u32_e64 v19, s[6:7], v19, v22, vcc
	v_subrev_co_u32_e64 v20, s[6:7], s50, v15
	v_subbrev_co_u32_e64 v19, s[6:7], 0, v19, s[6:7]
	v_cmp_le_u32_e64 s[6:7], s51, v19
	v_subb_co_u32_e32 v16, vcc, v21, v16, vcc
	v_cndmask_b32_e64 v22, 0, -1, s[6:7]
	v_cmp_le_u32_e64 s[6:7], s50, v20
	v_cmp_le_u32_e32 vcc, s51, v16
	v_cndmask_b32_e64 v20, 0, -1, s[6:7]
	v_cmp_eq_u32_e64 s[6:7], s51, v19
	v_cndmask_b32_e64 v21, 0, -1, vcc
	v_cmp_le_u32_e32 vcc, s50, v15
	v_cndmask_b32_e64 v19, v22, v20, s[6:7]
	v_cndmask_b32_e64 v15, 0, -1, vcc
	v_cmp_eq_u32_e32 vcc, s51, v16
	v_add_co_u32_e64 v20, s[6:7], 2, v18
	v_add_co_u32_e64 v22, s[6:7], 1, v18
	v_cndmask_b32_e32 v15, v21, v15, vcc
	v_cmp_ne_u32_e32 vcc, 0, v19
	v_cndmask_b32_e32 v16, v22, v20, vcc
	v_cmp_ne_u32_e32 vcc, 0, v15
	v_cndmask_b32_e32 v15, v18, v16, vcc
	v_xor_b32_e32 v15, v15, v2
	v_sub_co_u32_e32 v18, vcc, v15, v2
                                        ; implicit-def: $vgpr20
                                        ; implicit-def: $vgpr15_vgpr16
.LBB8_67:                               ;   in Loop: Header=BB8_56 Depth=4
	s_andn2_saveexec_b64 s[6:7], s[46:47]
	s_cbranch_execz .LBB8_69
; %bb.68:                               ;   in Loop: Header=BB8_56 Depth=4
	v_mul_f32_e32 v2, 0x4f7ffffe, v20
	v_cvt_u32_f32_e32 v2, v2
	s_sub_i32 s27, 0, s65
	v_mul_lo_u32 v16, s27, v2
	v_mul_hi_u32 v16, v2, v16
	v_add_u32_e32 v2, v2, v16
	v_mul_hi_u32 v2, v15, v2
	v_mul_lo_u32 v16, v2, s65
	v_add_u32_e32 v18, 1, v2
	v_sub_u32_e32 v15, v15, v16
	v_subrev_u32_e32 v16, s65, v15
	v_cmp_le_u32_e32 vcc, s65, v15
	v_cndmask_b32_e32 v15, v15, v16, vcc
	v_cndmask_b32_e32 v2, v2, v18, vcc
	v_add_u32_e32 v16, 1, v2
	v_cmp_le_u32_e32 vcc, s65, v15
	v_cndmask_b32_e32 v18, v2, v16, vcc
.LBB8_69:                               ;   in Loop: Header=BB8_56 Depth=4
	s_or_b64 exec, exec, s[6:7]
	global_load_dwordx2 v[15:16], v[8:9], off
	v_mad_u64_u32 v[18:19], s[6:7], v14, s55, v[18:19]
	v_ashrrev_i32_e32 v14, 31, v13
	v_lshlrev_b64 v[19:20], 3, v[13:14]
	v_sub_u32_e32 v14, v17, v18
	v_mul_lo_u32 v14, v36, v14
	v_mov_b32_e32 v2, s37
	v_add_co_u32_e32 v17, vcc, s36, v19
	v_addc_co_u32_e32 v18, vcc, v2, v20, vcc
	v_mov_b32_e32 v20, v11
	v_mov_b32_e32 v22, v7
	v_add_u32_e32 v14, v14, v36
	s_mov_b64 s[46:47], 0
	v_mov_b32_e32 v19, v10
	v_mov_b32_e32 v21, v6
	s_branch .LBB8_71
.LBB8_70:                               ;   in Loop: Header=BB8_71 Depth=5
	s_or_b64 exec, exec, s[6:7]
	global_load_dwordx2 v[25:26], v[17:18], off
	v_mad_u64_u32 v[27:28], s[6:7], v24, s57, v[27:28]
	v_sub_u32_e32 v2, v23, v27
	s_waitcnt vmcnt(1)
	v_mad_u64_u32 v[23:24], s[6:7], v14, v2, v[14:15]
	v_mov_b32_e32 v2, s56
	v_cvt_f64_i32_e32 v[23:24], v23
	s_waitcnt vmcnt(0)
	v_div_scale_f64 v[27:28], s[6:7], v[23:24], v[23:24], v[25:26]
	v_rcp_f64_e32 v[38:39], v[27:28]
	v_fma_f64 v[40:41], -v[27:28], v[38:39], 1.0
	v_fma_f64 v[38:39], v[38:39], v[40:41], v[38:39]
	v_div_scale_f64 v[40:41], vcc, v[25:26], v[23:24], v[25:26]
	v_fma_f64 v[42:43], -v[27:28], v[38:39], 1.0
	v_fma_f64 v[38:39], v[38:39], v[42:43], v[38:39]
	v_mul_f64 v[42:43], v[40:41], v[38:39]
	v_fma_f64 v[27:28], -v[27:28], v[42:43], v[40:41]
	v_div_fmas_f64 v[27:28], v[27:28], v[38:39], v[42:43]
	v_add_co_u32_e32 v21, vcc, 1, v21
	v_addc_co_u32_e32 v22, vcc, 0, v22, vcc
	v_add_co_u32_e32 v17, vcc, 8, v17
	v_addc_co_u32_e32 v18, vcc, 0, v18, vcc
	v_cmp_ge_i32_e32 vcc, v21, v35
	s_or_b64 s[46:47], vcc, s[46:47]
	v_add_co_u32_e32 v19, vcc, s57, v19
	v_addc_co_u32_e32 v20, vcc, v20, v2, vcc
	v_div_fixup_f64 v[23:24], v[27:28], v[23:24], v[25:26]
	v_add_f64 v[15:16], v[15:16], v[23:24]
	global_store_dwordx2 v[8:9], v[15:16], off
	s_andn2_b64 exec, exec, s[46:47]
	s_cbranch_execz .LBB8_55
.LBB8_71:                               ;   Parent Loop BB8_12 Depth=1
                                        ;     Parent Loop BB8_27 Depth=2
                                        ;       Parent Loop BB8_42 Depth=3
                                        ;         Parent Loop BB8_56 Depth=4
                                        ; =>        This Inner Loop Header: Depth=5
	v_or_b32_e32 v2, s61, v20
	v_cmp_ne_u64_e32 vcc, 0, v[1:2]
                                        ; implicit-def: $vgpr23_vgpr24
	s_and_saveexec_b64 s[6:7], vcc
	s_xor_b64 s[48:49], exec, s[6:7]
	s_cbranch_execz .LBB8_73
; %bb.72:                               ;   in Loop: Header=BB8_71 Depth=5
	s_ashr_i32 s50, s61, 31
	s_add_u32 s6, s66, s50
	s_mov_b32 s51, s50
	s_addc_u32 s7, s61, s50
	s_xor_b64 s[52:53], s[6:7], s[50:51]
	v_cvt_f32_u32_e32 v2, s52
	v_cvt_f32_u32_e32 v23, s53
	s_sub_u32 s27, 0, s52
	s_subb_u32 s29, 0, s53
	v_mac_f32_e32 v2, 0x4f800000, v23
	v_rcp_f32_e32 v2, v2
	v_mul_f32_e32 v2, 0x5f7ffffc, v2
	v_mul_f32_e32 v23, 0x2f800000, v2
	v_trunc_f32_e32 v23, v23
	v_mac_f32_e32 v2, 0xcf800000, v23
	v_cvt_u32_f32_e32 v23, v23
	v_cvt_u32_f32_e32 v2, v2
	v_readfirstlane_b32 s39, v23
	v_readfirstlane_b32 s6, v2
	s_mul_i32 s7, s27, s39
	s_mul_hi_u32 s67, s27, s6
	s_mul_i32 s51, s29, s6
	s_add_i32 s7, s67, s7
	s_add_i32 s7, s7, s51
	s_mul_i32 s68, s27, s6
	s_mul_i32 s67, s6, s7
	s_mul_hi_u32 s69, s6, s68
	s_mul_hi_u32 s51, s6, s7
	s_add_u32 s67, s69, s67
	s_addc_u32 s51, 0, s51
	s_mul_hi_u32 s70, s39, s68
	s_mul_i32 s68, s39, s68
	s_add_u32 s67, s67, s68
	s_mul_hi_u32 s69, s39, s7
	s_addc_u32 s51, s51, s70
	s_addc_u32 s67, s69, 0
	s_mul_i32 s7, s39, s7
	s_add_u32 s7, s51, s7
	s_addc_u32 s51, 0, s67
	s_add_u32 s67, s6, s7
	s_cselect_b64 s[6:7], -1, 0
	s_cmp_lg_u64 s[6:7], 0
	s_addc_u32 s39, s39, s51
	s_mul_i32 s6, s27, s39
	s_mul_hi_u32 s7, s27, s67
	s_add_i32 s6, s7, s6
	s_mul_i32 s29, s29, s67
	s_add_i32 s6, s6, s29
	s_mul_i32 s27, s27, s67
	s_mul_hi_u32 s29, s39, s27
	s_mul_i32 s51, s39, s27
	s_mul_i32 s69, s67, s6
	s_mul_hi_u32 s27, s67, s27
	s_mul_hi_u32 s68, s67, s6
	s_add_u32 s27, s27, s69
	s_addc_u32 s68, 0, s68
	s_add_u32 s27, s27, s51
	s_mul_hi_u32 s7, s39, s6
	s_addc_u32 s27, s68, s29
	s_addc_u32 s7, s7, 0
	s_mul_i32 s6, s39, s6
	s_add_u32 s6, s27, s6
	s_addc_u32 s27, 0, s7
	s_add_u32 s29, s67, s6
	s_cselect_b64 s[6:7], -1, 0
	v_ashrrev_i32_e32 v2, 31, v20
	s_cmp_lg_u64 s[6:7], 0
	v_add_co_u32_e32 v23, vcc, v19, v2
	s_addc_u32 s27, s39, s27
	v_xor_b32_e32 v27, v23, v2
	v_mad_u64_u32 v[23:24], s[6:7], v27, s27, 0
	v_mul_hi_u32 v25, v27, s29
	v_addc_co_u32_e32 v26, vcc, v20, v2, vcc
	v_xor_b32_e32 v28, v26, v2
	v_add_co_u32_e32 v38, vcc, v25, v23
	v_addc_co_u32_e32 v39, vcc, 0, v24, vcc
	v_mad_u64_u32 v[23:24], s[6:7], v28, s29, 0
	v_mad_u64_u32 v[25:26], s[6:7], v28, s27, 0
	v_add_co_u32_e32 v23, vcc, v38, v23
	v_addc_co_u32_e32 v23, vcc, v39, v24, vcc
	v_addc_co_u32_e32 v24, vcc, 0, v26, vcc
	v_add_co_u32_e32 v25, vcc, v23, v25
	v_addc_co_u32_e32 v23, vcc, 0, v24, vcc
	v_mul_lo_u32 v26, s53, v25
	v_mul_lo_u32 v38, s52, v23
	v_mad_u64_u32 v[23:24], s[6:7], s52, v25, 0
	v_xor_b32_e32 v2, s50, v2
	v_add3_u32 v24, v24, v38, v26
	v_sub_u32_e32 v26, v28, v24
	v_mov_b32_e32 v38, s53
	v_sub_co_u32_e32 v23, vcc, v27, v23
	v_subb_co_u32_e64 v26, s[6:7], v26, v38, vcc
	v_subrev_co_u32_e64 v27, s[6:7], s52, v23
	v_subbrev_co_u32_e64 v26, s[6:7], 0, v26, s[6:7]
	v_cmp_le_u32_e64 s[6:7], s53, v26
	v_subb_co_u32_e32 v24, vcc, v28, v24, vcc
	v_cndmask_b32_e64 v38, 0, -1, s[6:7]
	v_cmp_le_u32_e64 s[6:7], s52, v27
	v_cmp_le_u32_e32 vcc, s53, v24
	v_cndmask_b32_e64 v27, 0, -1, s[6:7]
	v_cmp_eq_u32_e64 s[6:7], s53, v26
	v_cndmask_b32_e64 v28, 0, -1, vcc
	v_cmp_le_u32_e32 vcc, s52, v23
	v_cndmask_b32_e64 v26, v38, v27, s[6:7]
	v_cndmask_b32_e64 v23, 0, -1, vcc
	v_cmp_eq_u32_e32 vcc, s53, v24
	v_add_co_u32_e64 v27, s[6:7], 2, v25
	v_add_co_u32_e64 v38, s[6:7], 1, v25
	v_cndmask_b32_e32 v23, v28, v23, vcc
	v_cmp_ne_u32_e32 vcc, 0, v26
	v_cndmask_b32_e32 v24, v38, v27, vcc
	v_cmp_ne_u32_e32 vcc, 0, v23
	v_cndmask_b32_e32 v23, v25, v24, vcc
	v_xor_b32_e32 v23, v23, v2
	v_sub_co_u32_e32 v23, vcc, v23, v2
.LBB8_73:                               ;   in Loop: Header=BB8_71 Depth=5
	s_or_saveexec_b64 s[48:49], s[48:49]
	v_cvt_f32_u32_e32 v38, s66
	s_xor_b64 exec, exec, s[48:49]
	s_cbranch_execz .LBB8_75
; %bb.74:                               ;   in Loop: Header=BB8_71 Depth=5
	v_rcp_iflag_f32_e32 v2, v38
	s_sub_i32 s6, 0, s66
	v_mul_f32_e32 v2, 0x4f7ffffe, v2
	v_cvt_u32_f32_e32 v2, v2
	v_mul_lo_u32 v23, s6, v2
	v_mul_hi_u32 v23, v2, v23
	v_add_u32_e32 v2, v2, v23
	v_mul_hi_u32 v2, v19, v2
	v_mul_lo_u32 v23, v2, s66
	v_sub_u32_e32 v23, v19, v23
	v_cmp_le_u32_e32 vcc, s66, v23
	v_subrev_u32_e32 v24, s66, v23
	v_cndmask_b32_e32 v23, v23, v24, vcc
	v_cmp_le_u32_e64 s[6:7], s66, v23
	v_add_u32_e32 v23, 1, v2
	v_cndmask_b32_e32 v2, v2, v23, vcc
	v_add_u32_e32 v23, 1, v2
	v_cndmask_b32_e64 v23, v2, v23, s[6:7]
.LBB8_75:                               ;   in Loop: Header=BB8_71 Depth=5
	s_or_b64 exec, exec, s[48:49]
	v_or_b32_e32 v2, s61, v22
	v_cmp_ne_u64_e32 vcc, 0, v[1:2]
                                        ; implicit-def: $vgpr24_vgpr25
	s_and_saveexec_b64 s[6:7], vcc
	s_xor_b64 s[48:49], exec, s[6:7]
	s_cbranch_execz .LBB8_77
; %bb.76:                               ;   in Loop: Header=BB8_71 Depth=5
	s_ashr_i32 s50, s61, 31
	s_add_u32 s6, s66, s50
	s_mov_b32 s51, s50
	s_addc_u32 s7, s61, s50
	s_xor_b64 s[52:53], s[6:7], s[50:51]
	v_cvt_f32_u32_e32 v2, s52
	v_cvt_f32_u32_e32 v24, s53
	s_sub_u32 s27, 0, s52
	s_subb_u32 s29, 0, s53
	v_mac_f32_e32 v2, 0x4f800000, v24
	v_rcp_f32_e32 v2, v2
	v_mul_f32_e32 v2, 0x5f7ffffc, v2
	v_mul_f32_e32 v24, 0x2f800000, v2
	v_trunc_f32_e32 v24, v24
	v_mac_f32_e32 v2, 0xcf800000, v24
	v_cvt_u32_f32_e32 v24, v24
	v_cvt_u32_f32_e32 v2, v2
	v_readfirstlane_b32 s39, v24
	v_readfirstlane_b32 s6, v2
	s_mul_i32 s7, s27, s39
	s_mul_hi_u32 s67, s27, s6
	s_mul_i32 s51, s29, s6
	s_add_i32 s7, s67, s7
	s_add_i32 s7, s7, s51
	s_mul_i32 s68, s27, s6
	s_mul_i32 s67, s6, s7
	s_mul_hi_u32 s69, s6, s68
	s_mul_hi_u32 s51, s6, s7
	s_add_u32 s67, s69, s67
	s_addc_u32 s51, 0, s51
	s_mul_hi_u32 s70, s39, s68
	s_mul_i32 s68, s39, s68
	s_add_u32 s67, s67, s68
	s_mul_hi_u32 s69, s39, s7
	s_addc_u32 s51, s51, s70
	s_addc_u32 s67, s69, 0
	s_mul_i32 s7, s39, s7
	s_add_u32 s7, s51, s7
	s_addc_u32 s51, 0, s67
	s_add_u32 s67, s6, s7
	s_cselect_b64 s[6:7], -1, 0
	s_cmp_lg_u64 s[6:7], 0
	s_addc_u32 s39, s39, s51
	s_mul_i32 s6, s27, s39
	s_mul_hi_u32 s7, s27, s67
	s_add_i32 s6, s7, s6
	s_mul_i32 s29, s29, s67
	s_add_i32 s6, s6, s29
	s_mul_i32 s27, s27, s67
	s_mul_hi_u32 s29, s39, s27
	s_mul_i32 s51, s39, s27
	s_mul_i32 s69, s67, s6
	s_mul_hi_u32 s27, s67, s27
	s_mul_hi_u32 s68, s67, s6
	s_add_u32 s27, s27, s69
	s_addc_u32 s68, 0, s68
	s_add_u32 s27, s27, s51
	s_mul_hi_u32 s7, s39, s6
	s_addc_u32 s27, s68, s29
	s_addc_u32 s7, s7, 0
	s_mul_i32 s6, s39, s6
	s_add_u32 s6, s27, s6
	s_addc_u32 s27, 0, s7
	s_add_u32 s29, s67, s6
	s_cselect_b64 s[6:7], -1, 0
	v_ashrrev_i32_e32 v2, 31, v22
	s_cmp_lg_u64 s[6:7], 0
	v_add_co_u32_e32 v24, vcc, v21, v2
	s_addc_u32 s27, s39, s27
	v_xor_b32_e32 v28, v24, v2
	v_mad_u64_u32 v[24:25], s[6:7], v28, s27, 0
	v_mul_hi_u32 v27, v28, s29
	v_addc_co_u32_e32 v26, vcc, v22, v2, vcc
	v_xor_b32_e32 v39, v26, v2
	v_add_co_u32_e32 v40, vcc, v27, v24
	v_addc_co_u32_e32 v41, vcc, 0, v25, vcc
	v_mad_u64_u32 v[24:25], s[6:7], v39, s29, 0
	v_mad_u64_u32 v[26:27], s[6:7], v39, s27, 0
	v_add_co_u32_e32 v24, vcc, v40, v24
	v_addc_co_u32_e32 v24, vcc, v41, v25, vcc
	v_addc_co_u32_e32 v25, vcc, 0, v27, vcc
	v_add_co_u32_e32 v26, vcc, v24, v26
	v_addc_co_u32_e32 v27, vcc, 0, v25, vcc
	v_mul_lo_u32 v40, s53, v26
	v_mul_lo_u32 v41, s52, v27
	v_mad_u64_u32 v[24:25], s[6:7], s52, v26, 0
	v_xor_b32_e32 v2, s50, v2
	v_add3_u32 v25, v25, v41, v40
	v_sub_u32_e32 v40, v39, v25
	v_mov_b32_e32 v41, s53
	v_sub_co_u32_e32 v24, vcc, v28, v24
	v_subb_co_u32_e64 v28, s[6:7], v40, v41, vcc
	v_subrev_co_u32_e64 v40, s[6:7], s52, v24
	v_subbrev_co_u32_e64 v28, s[6:7], 0, v28, s[6:7]
	v_cmp_le_u32_e64 s[6:7], s53, v28
	v_cndmask_b32_e64 v41, 0, -1, s[6:7]
	v_cmp_le_u32_e64 s[6:7], s52, v40
	v_cndmask_b32_e64 v40, 0, -1, s[6:7]
	v_cmp_eq_u32_e64 s[6:7], s53, v28
	v_cndmask_b32_e64 v28, v41, v40, s[6:7]
	v_add_co_u32_e64 v40, s[6:7], 2, v26
	v_subb_co_u32_e32 v25, vcc, v39, v25, vcc
	v_addc_co_u32_e64 v41, s[6:7], 0, v27, s[6:7]
	v_cmp_le_u32_e32 vcc, s53, v25
	v_add_co_u32_e64 v42, s[6:7], 1, v26
	v_cndmask_b32_e64 v39, 0, -1, vcc
	v_cmp_le_u32_e32 vcc, s52, v24
	v_addc_co_u32_e64 v43, s[6:7], 0, v27, s[6:7]
	v_cndmask_b32_e64 v24, 0, -1, vcc
	v_cmp_eq_u32_e32 vcc, s53, v25
	v_cmp_ne_u32_e64 s[6:7], 0, v28
	v_cndmask_b32_e32 v24, v39, v24, vcc
	v_cndmask_b32_e64 v28, v43, v41, s[6:7]
	v_cmp_ne_u32_e32 vcc, 0, v24
	v_cndmask_b32_e64 v25, v42, v40, s[6:7]
	v_cndmask_b32_e32 v24, v27, v28, vcc
	v_cndmask_b32_e32 v25, v26, v25, vcc
	v_xor_b32_e32 v26, v24, v2
	v_xor_b32_e32 v24, v25, v2
	v_sub_co_u32_e32 v24, vcc, v24, v2
	v_subb_co_u32_e32 v25, vcc, v26, v2, vcc
.LBB8_77:                               ;   in Loop: Header=BB8_71 Depth=5
	s_andn2_saveexec_b64 s[6:7], s[48:49]
	s_cbranch_execz .LBB8_79
; %bb.78:                               ;   in Loop: Header=BB8_71 Depth=5
	v_rcp_iflag_f32_e32 v2, v38
	s_sub_i32 s27, 0, s66
	v_mul_f32_e32 v2, 0x4f7ffffe, v2
	v_cvt_u32_f32_e32 v2, v2
	v_mul_lo_u32 v24, s27, v2
	v_mul_hi_u32 v24, v2, v24
	v_add_u32_e32 v2, v2, v24
	v_mul_hi_u32 v2, v21, v2
	v_mul_lo_u32 v24, v2, s66
	v_add_u32_e32 v25, 1, v2
	v_sub_u32_e32 v24, v21, v24
	v_subrev_u32_e32 v26, s66, v24
	v_cmp_le_u32_e32 vcc, s66, v24
	v_cndmask_b32_e32 v24, v24, v26, vcc
	v_cndmask_b32_e32 v2, v2, v25, vcc
	v_add_u32_e32 v25, 1, v2
	v_cmp_le_u32_e32 vcc, s66, v24
	v_cndmask_b32_e32 v24, v2, v25, vcc
	v_mov_b32_e32 v25, v1
.LBB8_79:                               ;   in Loop: Header=BB8_71 Depth=5
	s_or_b64 exec, exec, s[6:7]
	v_mul_lo_u32 v2, v25, s66
	v_mul_lo_u32 v27, v24, s61
	v_mad_u64_u32 v[25:26], s[6:7], v24, s66, 0
	v_add3_u32 v2, v26, v27, v2
	v_sub_co_u32_e32 v25, vcc, v21, v25
	v_subb_co_u32_e32 v2, vcc, v22, v2, vcc
	v_mul_lo_u32 v2, v2, s57
	v_mul_lo_u32 v27, v25, s56
	v_mad_u64_u32 v[25:26], s[6:7], v25, s57, 0
	v_add3_u32 v26, v26, v27, v2
	v_or_b32_e32 v2, s61, v26
	v_cmp_ne_u64_e32 vcc, 0, v[1:2]
                                        ; implicit-def: $vgpr27_vgpr28
	s_and_saveexec_b64 s[6:7], vcc
	s_xor_b64 s[48:49], exec, s[6:7]
	s_cbranch_execz .LBB8_81
; %bb.80:                               ;   in Loop: Header=BB8_71 Depth=5
	s_ashr_i32 s50, s61, 31
	s_add_u32 s6, s66, s50
	s_mov_b32 s51, s50
	s_addc_u32 s7, s61, s50
	s_xor_b64 s[52:53], s[6:7], s[50:51]
	v_cvt_f32_u32_e32 v2, s52
	v_cvt_f32_u32_e32 v27, s53
	s_sub_u32 s27, 0, s52
	s_subb_u32 s29, 0, s53
	v_mac_f32_e32 v2, 0x4f800000, v27
	v_rcp_f32_e32 v2, v2
	v_mul_f32_e32 v2, 0x5f7ffffc, v2
	v_mul_f32_e32 v27, 0x2f800000, v2
	v_trunc_f32_e32 v27, v27
	v_mac_f32_e32 v2, 0xcf800000, v27
	v_cvt_u32_f32_e32 v27, v27
	v_cvt_u32_f32_e32 v2, v2
	v_readfirstlane_b32 s39, v27
	v_readfirstlane_b32 s6, v2
	s_mul_i32 s7, s27, s39
	s_mul_hi_u32 s67, s27, s6
	s_mul_i32 s51, s29, s6
	s_add_i32 s7, s67, s7
	s_add_i32 s7, s7, s51
	s_mul_i32 s68, s27, s6
	s_mul_i32 s67, s6, s7
	s_mul_hi_u32 s69, s6, s68
	s_mul_hi_u32 s51, s6, s7
	s_add_u32 s67, s69, s67
	s_addc_u32 s51, 0, s51
	s_mul_hi_u32 s70, s39, s68
	s_mul_i32 s68, s39, s68
	s_add_u32 s67, s67, s68
	s_mul_hi_u32 s69, s39, s7
	s_addc_u32 s51, s51, s70
	s_addc_u32 s67, s69, 0
	s_mul_i32 s7, s39, s7
	s_add_u32 s7, s51, s7
	s_addc_u32 s51, 0, s67
	s_add_u32 s67, s6, s7
	s_cselect_b64 s[6:7], -1, 0
	s_cmp_lg_u64 s[6:7], 0
	s_addc_u32 s39, s39, s51
	s_mul_i32 s6, s27, s39
	s_mul_hi_u32 s7, s27, s67
	s_add_i32 s6, s7, s6
	s_mul_i32 s29, s29, s67
	s_add_i32 s6, s6, s29
	s_mul_i32 s27, s27, s67
	s_mul_hi_u32 s29, s39, s27
	s_mul_i32 s51, s39, s27
	s_mul_i32 s69, s67, s6
	s_mul_hi_u32 s27, s67, s27
	s_mul_hi_u32 s68, s67, s6
	s_add_u32 s27, s27, s69
	s_addc_u32 s68, 0, s68
	s_add_u32 s27, s27, s51
	s_mul_hi_u32 s7, s39, s6
	s_addc_u32 s27, s68, s29
	s_addc_u32 s7, s7, 0
	s_mul_i32 s6, s39, s6
	s_add_u32 s6, s27, s6
	s_addc_u32 s27, 0, s7
	s_add_u32 s29, s67, s6
	s_cselect_b64 s[6:7], -1, 0
	v_ashrrev_i32_e32 v2, 31, v26
	s_cmp_lg_u64 s[6:7], 0
	v_add_co_u32_e32 v25, vcc, v25, v2
	s_addc_u32 s27, s39, s27
	v_xor_b32_e32 v38, v25, v2
	v_addc_co_u32_e32 v27, vcc, v26, v2, vcc
	v_mad_u64_u32 v[25:26], s[6:7], v38, s27, 0
	v_mul_hi_u32 v28, v38, s29
	v_xor_b32_e32 v39, v27, v2
	v_xor_b32_e32 v2, s50, v2
	v_add_co_u32_e32 v40, vcc, v28, v25
	v_addc_co_u32_e32 v41, vcc, 0, v26, vcc
	v_mad_u64_u32 v[25:26], s[6:7], v39, s29, 0
	v_mad_u64_u32 v[27:28], s[6:7], v39, s27, 0
	v_add_co_u32_e32 v25, vcc, v40, v25
	v_addc_co_u32_e32 v25, vcc, v41, v26, vcc
	v_addc_co_u32_e32 v26, vcc, 0, v28, vcc
	v_add_co_u32_e32 v27, vcc, v25, v27
	v_addc_co_u32_e32 v25, vcc, 0, v26, vcc
	v_mul_lo_u32 v28, s53, v27
	v_mul_lo_u32 v40, s52, v25
	v_mad_u64_u32 v[25:26], s[6:7], s52, v27, 0
	v_add3_u32 v26, v26, v40, v28
	v_sub_u32_e32 v28, v39, v26
	v_mov_b32_e32 v40, s53
	v_sub_co_u32_e32 v25, vcc, v38, v25
	v_subb_co_u32_e64 v28, s[6:7], v28, v40, vcc
	v_subrev_co_u32_e64 v38, s[6:7], s52, v25
	v_subbrev_co_u32_e64 v28, s[6:7], 0, v28, s[6:7]
	v_cmp_le_u32_e64 s[6:7], s53, v28
	v_subb_co_u32_e32 v26, vcc, v39, v26, vcc
	v_cndmask_b32_e64 v40, 0, -1, s[6:7]
	v_cmp_le_u32_e64 s[6:7], s52, v38
	v_cmp_le_u32_e32 vcc, s53, v26
	v_cndmask_b32_e64 v38, 0, -1, s[6:7]
	v_cmp_eq_u32_e64 s[6:7], s53, v28
	v_cndmask_b32_e64 v39, 0, -1, vcc
	v_cmp_le_u32_e32 vcc, s52, v25
	v_cndmask_b32_e64 v28, v40, v38, s[6:7]
	v_cndmask_b32_e64 v25, 0, -1, vcc
	v_cmp_eq_u32_e32 vcc, s53, v26
	v_add_co_u32_e64 v38, s[6:7], 2, v27
	v_add_co_u32_e64 v40, s[6:7], 1, v27
	v_cndmask_b32_e32 v25, v39, v25, vcc
	v_cmp_ne_u32_e32 vcc, 0, v28
	v_cndmask_b32_e32 v26, v40, v38, vcc
	v_cmp_ne_u32_e32 vcc, 0, v25
	v_cndmask_b32_e32 v25, v27, v26, vcc
	v_xor_b32_e32 v25, v25, v2
	v_sub_co_u32_e32 v27, vcc, v25, v2
                                        ; implicit-def: $vgpr38
                                        ; implicit-def: $vgpr25_vgpr26
.LBB8_81:                               ;   in Loop: Header=BB8_71 Depth=5
	s_andn2_saveexec_b64 s[6:7], s[48:49]
	s_cbranch_execz .LBB8_70
; %bb.82:                               ;   in Loop: Header=BB8_71 Depth=5
	v_rcp_iflag_f32_e32 v2, v38
	s_sub_i32 s27, 0, s66
	v_mul_f32_e32 v2, 0x4f7ffffe, v2
	v_cvt_u32_f32_e32 v2, v2
	v_mul_lo_u32 v26, s27, v2
	v_mul_hi_u32 v26, v2, v26
	v_add_u32_e32 v2, v2, v26
	v_mul_hi_u32 v2, v25, v2
	v_mul_lo_u32 v26, v2, s66
	v_add_u32_e32 v27, 1, v2
	v_sub_u32_e32 v25, v25, v26
	v_subrev_u32_e32 v26, s66, v25
	v_cmp_le_u32_e32 vcc, s66, v25
	v_cndmask_b32_e32 v25, v25, v26, vcc
	v_cndmask_b32_e32 v2, v2, v27, vcc
	v_add_u32_e32 v26, 1, v2
	v_cmp_le_u32_e32 vcc, s66, v25
	v_cndmask_b32_e32 v27, v2, v26, vcc
	s_branch .LBB8_70
.LBB8_83:                               ;   in Loop: Header=BB8_42 Depth=3
                                        ; implicit-def: $sgpr6_sgpr7
	s_branch .LBB8_49
.LBB8_84:                               ;   in Loop: Header=BB8_42 Depth=3
                                        ; implicit-def: $sgpr42_sgpr43
	v_mov_b32_e32 v14, s42
	v_mov_b32_e32 v15, s43
	s_branch .LBB8_52
.LBB8_85:
	s_endpgm
.LBB8_86:
                                        ; implicit-def: $sgpr20_sgpr21
	v_cvt_f32_u32_e32 v2, s14
	s_branch .LBB8_2
.LBB8_87:
                                        ; implicit-def: $sgpr0_sgpr1
	s_branch .LBB8_5
.LBB8_88:
                                        ; implicit-def: $sgpr24_sgpr25
	s_load_dword s21, s[4:5], 0x3c
	s_andn2_b64 vcc, exec, s[22:23]
	s_cbranch_vccz .LBB8_8
	s_branch .LBB8_9
	.section	.rodata,"a",@progbits
	.p2align	6, 0x0
	.amdhsa_kernel _ZN2at6native12_GLOBAL__N_124adaptiveaveragegradinputIddEEvPT_PKS3_iiiiiil
		.amdhsa_group_segment_fixed_size 0
		.amdhsa_private_segment_fixed_size 0
		.amdhsa_kernarg_size 304
		.amdhsa_user_sgpr_count 6
		.amdhsa_user_sgpr_private_segment_buffer 1
		.amdhsa_user_sgpr_dispatch_ptr 0
		.amdhsa_user_sgpr_queue_ptr 0
		.amdhsa_user_sgpr_kernarg_segment_ptr 1
		.amdhsa_user_sgpr_dispatch_id 0
		.amdhsa_user_sgpr_flat_scratch_init 0
		.amdhsa_user_sgpr_private_segment_size 0
		.amdhsa_uses_dynamic_stack 0
		.amdhsa_system_sgpr_private_segment_wavefront_offset 0
		.amdhsa_system_sgpr_workgroup_id_x 1
		.amdhsa_system_sgpr_workgroup_id_y 1
		.amdhsa_system_sgpr_workgroup_id_z 0
		.amdhsa_system_sgpr_workgroup_info 0
		.amdhsa_system_vgpr_workitem_id 1
		.amdhsa_next_free_vgpr 44
		.amdhsa_next_free_sgpr 71
		.amdhsa_reserve_vcc 1
		.amdhsa_reserve_flat_scratch 0
		.amdhsa_float_round_mode_32 0
		.amdhsa_float_round_mode_16_64 0
		.amdhsa_float_denorm_mode_32 3
		.amdhsa_float_denorm_mode_16_64 3
		.amdhsa_dx10_clamp 1
		.amdhsa_ieee_mode 1
		.amdhsa_fp16_overflow 0
		.amdhsa_exception_fp_ieee_invalid_op 0
		.amdhsa_exception_fp_denorm_src 0
		.amdhsa_exception_fp_ieee_div_zero 0
		.amdhsa_exception_fp_ieee_overflow 0
		.amdhsa_exception_fp_ieee_underflow 0
		.amdhsa_exception_fp_ieee_inexact 0
		.amdhsa_exception_int_div_zero 0
	.end_amdhsa_kernel
	.section	.text._ZN2at6native12_GLOBAL__N_124adaptiveaveragegradinputIddEEvPT_PKS3_iiiiiil,"axG",@progbits,_ZN2at6native12_GLOBAL__N_124adaptiveaveragegradinputIddEEvPT_PKS3_iiiiiil,comdat
.Lfunc_end8:
	.size	_ZN2at6native12_GLOBAL__N_124adaptiveaveragegradinputIddEEvPT_PKS3_iiiiiil, .Lfunc_end8-_ZN2at6native12_GLOBAL__N_124adaptiveaveragegradinputIddEEvPT_PKS3_iiiiiil
                                        ; -- End function
	.set _ZN2at6native12_GLOBAL__N_124adaptiveaveragegradinputIddEEvPT_PKS3_iiiiiil.num_vgpr, 44
	.set _ZN2at6native12_GLOBAL__N_124adaptiveaveragegradinputIddEEvPT_PKS3_iiiiiil.num_agpr, 0
	.set _ZN2at6native12_GLOBAL__N_124adaptiveaveragegradinputIddEEvPT_PKS3_iiiiiil.numbered_sgpr, 71
	.set _ZN2at6native12_GLOBAL__N_124adaptiveaveragegradinputIddEEvPT_PKS3_iiiiiil.num_named_barrier, 0
	.set _ZN2at6native12_GLOBAL__N_124adaptiveaveragegradinputIddEEvPT_PKS3_iiiiiil.private_seg_size, 0
	.set _ZN2at6native12_GLOBAL__N_124adaptiveaveragegradinputIddEEvPT_PKS3_iiiiiil.uses_vcc, 1
	.set _ZN2at6native12_GLOBAL__N_124adaptiveaveragegradinputIddEEvPT_PKS3_iiiiiil.uses_flat_scratch, 0
	.set _ZN2at6native12_GLOBAL__N_124adaptiveaveragegradinputIddEEvPT_PKS3_iiiiiil.has_dyn_sized_stack, 0
	.set _ZN2at6native12_GLOBAL__N_124adaptiveaveragegradinputIddEEvPT_PKS3_iiiiiil.has_recursion, 0
	.set _ZN2at6native12_GLOBAL__N_124adaptiveaveragegradinputIddEEvPT_PKS3_iiiiiil.has_indirect_call, 0
	.section	.AMDGPU.csdata,"",@progbits
; Kernel info:
; codeLenInByte = 13436
; TotalNumSgprs: 75
; NumVgprs: 44
; ScratchSize: 0
; MemoryBound: 0
; FloatMode: 240
; IeeeMode: 1
; LDSByteSize: 0 bytes/workgroup (compile time only)
; SGPRBlocks: 9
; VGPRBlocks: 10
; NumSGPRsForWavesPerEU: 75
; NumVGPRsForWavesPerEU: 44
; Occupancy: 5
; WaveLimiterHint : 0
; COMPUTE_PGM_RSRC2:SCRATCH_EN: 0
; COMPUTE_PGM_RSRC2:USER_SGPR: 6
; COMPUTE_PGM_RSRC2:TRAP_HANDLER: 0
; COMPUTE_PGM_RSRC2:TGID_X_EN: 1
; COMPUTE_PGM_RSRC2:TGID_Y_EN: 1
; COMPUTE_PGM_RSRC2:TGID_Z_EN: 0
; COMPUTE_PGM_RSRC2:TIDIG_COMP_CNT: 1
	.section	.text._ZN2at6native12_GLOBAL__N_124adaptiveaveragegradinputIffEEvPT_PKS3_iiiiiil,"axG",@progbits,_ZN2at6native12_GLOBAL__N_124adaptiveaveragegradinputIffEEvPT_PKS3_iiiiiil,comdat
	.globl	_ZN2at6native12_GLOBAL__N_124adaptiveaveragegradinputIffEEvPT_PKS3_iiiiiil ; -- Begin function _ZN2at6native12_GLOBAL__N_124adaptiveaveragegradinputIffEEvPT_PKS3_iiiiiil
	.p2align	8
	.type	_ZN2at6native12_GLOBAL__N_124adaptiveaveragegradinputIffEEvPT_PKS3_iiiiiil,@function
_ZN2at6native12_GLOBAL__N_124adaptiveaveragegradinputIffEEvPT_PKS3_iiiiiil: ; @_ZN2at6native12_GLOBAL__N_124adaptiveaveragegradinputIffEEvPT_PKS3_iiiiiil
; %bb.0:
	s_load_dwordx8 s[8:15], s[4:5], 0x10
	s_mov_b32 s0, 0
	s_waitcnt lgkmcnt(0)
	s_add_u32 s18, s14, s6
	s_addc_u32 s19, s15, 0
	s_ashr_i32 s15, s8, 31
	s_mov_b32 s14, s8
	s_or_b64 s[2:3], s[18:19], s[14:15]
	s_mov_b32 s1, s3
	s_cmp_lg_u64 s[0:1], 0
	s_cbranch_scc0 .LBB9_86
; %bb.1:
	s_ashr_i32 s2, s15, 31
	s_add_u32 s0, s14, s2
	s_mov_b32 s3, s2
	s_addc_u32 s1, s15, s2
	s_xor_b64 s[16:17], s[0:1], s[2:3]
	v_cvt_f32_u32_e32 v2, s16
	v_cvt_f32_u32_e32 v3, s17
	s_sub_u32 s6, 0, s16
	s_subb_u32 s8, 0, s17
	v_madmk_f32 v2, v3, 0x4f800000, v2
	v_rcp_f32_e32 v2, v2
	v_mul_f32_e32 v2, 0x5f7ffffc, v2
	v_mul_f32_e32 v3, 0x2f800000, v2
	v_trunc_f32_e32 v3, v3
	v_madmk_f32 v2, v3, 0xcf800000, v2
	v_cvt_u32_f32_e32 v3, v3
	v_cvt_u32_f32_e32 v2, v2
	v_readfirstlane_b32 s22, v3
	v_readfirstlane_b32 s20, v2
	s_mul_i32 s21, s6, s22
	s_mul_hi_u32 s24, s6, s20
	s_mul_i32 s23, s8, s20
	s_add_i32 s21, s24, s21
	s_add_i32 s21, s21, s23
	s_mul_i32 s25, s6, s20
	s_mul_i32 s24, s20, s21
	s_mul_hi_u32 s26, s20, s25
	s_mul_hi_u32 s23, s20, s21
	s_add_u32 s24, s26, s24
	s_addc_u32 s23, 0, s23
	s_mul_hi_u32 s27, s22, s25
	s_mul_i32 s25, s22, s25
	s_add_u32 s24, s24, s25
	s_mul_hi_u32 s26, s22, s21
	s_addc_u32 s23, s23, s27
	s_addc_u32 s24, s26, 0
	s_mul_i32 s21, s22, s21
	s_add_u32 s21, s23, s21
	s_addc_u32 s23, 0, s24
	s_add_u32 s24, s20, s21
	s_cselect_b64 s[20:21], -1, 0
	s_cmp_lg_u64 s[20:21], 0
	s_addc_u32 s22, s22, s23
	s_mul_i32 s20, s6, s22
	s_mul_hi_u32 s21, s6, s24
	s_add_i32 s20, s21, s20
	s_mul_i32 s8, s8, s24
	s_add_i32 s20, s20, s8
	s_mul_i32 s6, s6, s24
	s_mul_hi_u32 s21, s22, s6
	s_mul_i32 s23, s22, s6
	s_mul_i32 s26, s24, s20
	s_mul_hi_u32 s6, s24, s6
	s_mul_hi_u32 s25, s24, s20
	s_add_u32 s6, s6, s26
	s_addc_u32 s25, 0, s25
	s_add_u32 s6, s6, s23
	s_mul_hi_u32 s8, s22, s20
	s_addc_u32 s6, s25, s21
	s_addc_u32 s8, s8, 0
	s_mul_i32 s20, s22, s20
	s_add_u32 s6, s6, s20
	s_addc_u32 s8, 0, s8
	s_add_u32 s6, s24, s6
	s_cselect_b64 s[20:21], -1, 0
	s_cmp_lg_u64 s[20:21], 0
	s_addc_u32 s8, s22, s8
	s_ashr_i32 s20, s19, 31
	s_add_u32 s22, s18, s20
	s_mov_b32 s21, s20
	s_addc_u32 s23, s19, s20
	s_xor_b64 s[22:23], s[22:23], s[20:21]
	s_mul_i32 s25, s22, s8
	s_mul_hi_u32 s26, s22, s6
	s_mul_hi_u32 s24, s22, s8
	s_add_u32 s25, s26, s25
	s_addc_u32 s24, 0, s24
	s_mul_hi_u32 s27, s23, s6
	s_mul_i32 s6, s23, s6
	s_add_u32 s6, s25, s6
	s_mul_hi_u32 s26, s23, s8
	s_addc_u32 s6, s24, s27
	s_addc_u32 s24, s26, 0
	s_mul_i32 s8, s23, s8
	s_add_u32 s6, s6, s8
	s_addc_u32 s8, 0, s24
	s_mul_i32 s24, s16, s8
	s_mul_hi_u32 s25, s16, s6
	s_add_i32 s24, s25, s24
	s_mul_i32 s25, s17, s6
	s_add_i32 s28, s24, s25
	s_sub_i32 s26, s23, s28
	s_mul_i32 s24, s16, s6
	s_sub_u32 s22, s22, s24
	s_cselect_b64 s[24:25], -1, 0
	s_cmp_lg_u64 s[24:25], 0
	s_subb_u32 s29, s26, s17
	s_sub_u32 s30, s22, s16
	s_cselect_b64 s[26:27], -1, 0
	s_cmp_lg_u64 s[26:27], 0
	s_subb_u32 s26, s29, 0
	s_cmp_ge_u32 s26, s17
	s_cselect_b32 s27, -1, 0
	s_cmp_ge_u32 s30, s16
	s_cselect_b32 s29, -1, 0
	s_cmp_eq_u32 s26, s17
	s_cselect_b32 s26, s29, s27
	s_add_u32 s27, s6, 1
	s_addc_u32 s29, s8, 0
	s_add_u32 s30, s6, 2
	s_addc_u32 s31, s8, 0
	s_cmp_lg_u32 s26, 0
	s_cselect_b32 s26, s30, s27
	s_cselect_b32 s27, s31, s29
	s_cmp_lg_u64 s[24:25], 0
	s_subb_u32 s23, s23, s28
	s_cmp_ge_u32 s23, s17
	s_cselect_b32 s24, -1, 0
	s_cmp_ge_u32 s22, s16
	s_cselect_b32 s16, -1, 0
	s_cmp_eq_u32 s23, s17
	s_cselect_b32 s16, s16, s24
	s_cmp_lg_u32 s16, 0
	s_cselect_b32 s17, s27, s8
	s_cselect_b32 s16, s26, s6
	s_xor_b64 s[2:3], s[20:21], s[2:3]
	s_xor_b64 s[16:17], s[16:17], s[2:3]
	s_sub_u32 s20, s16, s2
	s_subb_u32 s21, s17, s3
	v_cvt_f32_u32_e32 v2, s14
	s_cbranch_execnz .LBB9_3
.LBB9_2:
	v_rcp_iflag_f32_e32 v3, v2
	s_sub_i32 s0, 0, s14
	s_mov_b32 s21, 0
	v_mul_f32_e32 v3, 0x4f7ffffe, v3
	v_cvt_u32_f32_e32 v3, v3
	v_readfirstlane_b32 s1, v3
	s_mul_i32 s0, s0, s1
	s_mul_hi_u32 s0, s1, s0
	s_add_i32 s1, s1, s0
	s_mul_hi_u32 s0, s18, s1
	s_mul_i32 s2, s0, s14
	s_sub_i32 s2, s18, s2
	s_add_i32 s1, s0, 1
	s_sub_i32 s3, s2, s14
	s_cmp_ge_u32 s2, s14
	s_cselect_b32 s0, s1, s0
	s_cselect_b32 s2, s3, s2
	s_add_i32 s1, s0, 1
	s_cmp_ge_u32 s2, s14
	s_cselect_b32 s20, s1, s0
.LBB9_3:
	s_mul_i32 s0, s20, s15
	s_mul_hi_u32 s1, s20, s14
	s_add_i32 s0, s1, s0
	s_mul_i32 s1, s21, s14
	s_add_i32 s0, s0, s1
	s_mul_i32 s1, s20, s14
	s_sub_u32 s8, s18, s1
	s_subb_u32 s21, s19, s0
	s_abs_i32 s1, s14
	v_cvt_f32_u32_e32 v3, s1
	s_sub_i32 s6, 0, s1
	s_abs_i32 s3, s8
	s_xor_b32 s0, s8, s14
	v_rcp_iflag_f32_e32 v3, v3
	s_ashr_i32 s17, s11, 31
	s_ashr_i32 s2, s0, 31
	s_mov_b32 s0, 0
	v_mul_f32_e32 v3, 0x4f7ffffe, v3
	v_cvt_u32_f32_e32 v3, v3
	v_readfirstlane_b32 s16, v3
	s_mul_i32 s6, s6, s16
	s_mul_hi_u32 s6, s16, s6
	s_add_i32 s16, s16, s6
	s_mul_hi_u32 s6, s3, s16
	s_mul_i32 s16, s6, s1
	s_sub_i32 s3, s3, s16
	s_add_i32 s16, s6, 1
	s_sub_i32 s22, s3, s1
	s_cmp_ge_u32 s3, s1
	s_cselect_b32 s6, s16, s6
	s_cselect_b32 s3, s22, s3
	s_add_i32 s16, s6, 1
	s_cmp_ge_u32 s3, s1
	s_cselect_b32 s1, s16, s6
	s_xor_b32 s1, s1, s2
	s_sub_i32 s6, s1, s2
	s_mul_i32 s1, s6, s14
	s_sub_i32 s1, s8, s1
	s_mul_hi_i32 s3, s1, s11
	s_mul_i32 s2, s1, s11
	s_or_b64 s[22:23], s[2:3], s[14:15]
	s_mov_b32 s1, s23
	s_cmp_lg_u64 s[0:1], 0
	s_mov_b32 s16, s11
	s_cbranch_scc0 .LBB9_87
; %bb.4:
	s_ashr_i32 s0, s15, 31
	s_add_u32 s22, s14, s0
	s_mov_b32 s1, s0
	s_addc_u32 s23, s15, s0
	s_xor_b64 s[24:25], s[22:23], s[0:1]
	v_cvt_f32_u32_e32 v3, s24
	v_cvt_f32_u32_e32 v4, s25
	s_sub_u32 s28, 0, s24
	s_subb_u32 s29, 0, s25
	v_madmk_f32 v3, v4, 0x4f800000, v3
	v_rcp_f32_e32 v3, v3
	v_mul_f32_e32 v3, 0x5f7ffffc, v3
	v_mul_f32_e32 v4, 0x2f800000, v3
	v_trunc_f32_e32 v4, v4
	v_madmk_f32 v3, v4, 0xcf800000, v3
	v_cvt_u32_f32_e32 v4, v4
	v_cvt_u32_f32_e32 v3, v3
	v_readfirstlane_b32 s30, v4
	v_readfirstlane_b32 s26, v3
	s_mul_i32 s27, s28, s30
	s_mul_hi_u32 s33, s28, s26
	s_mul_i32 s31, s29, s26
	s_add_i32 s27, s33, s27
	s_add_i32 s27, s27, s31
	s_mul_i32 s34, s28, s26
	s_mul_i32 s33, s26, s27
	s_mul_hi_u32 s35, s26, s34
	s_mul_hi_u32 s31, s26, s27
	s_add_u32 s33, s35, s33
	s_addc_u32 s31, 0, s31
	s_mul_hi_u32 s36, s30, s34
	s_mul_i32 s34, s30, s34
	s_add_u32 s33, s33, s34
	s_mul_hi_u32 s35, s30, s27
	s_addc_u32 s31, s31, s36
	s_addc_u32 s33, s35, 0
	s_mul_i32 s27, s30, s27
	s_add_u32 s27, s31, s27
	s_addc_u32 s31, 0, s33
	s_add_u32 s33, s26, s27
	s_cselect_b64 s[26:27], -1, 0
	s_cmp_lg_u64 s[26:27], 0
	s_addc_u32 s30, s30, s31
	s_mul_i32 s26, s28, s30
	s_mul_hi_u32 s27, s28, s33
	s_add_i32 s26, s27, s26
	s_mul_i32 s29, s29, s33
	s_add_i32 s26, s26, s29
	s_mul_i32 s28, s28, s33
	s_mul_hi_u32 s29, s30, s28
	s_mul_i32 s31, s30, s28
	s_mul_i32 s35, s33, s26
	s_mul_hi_u32 s28, s33, s28
	s_mul_hi_u32 s34, s33, s26
	s_add_u32 s28, s28, s35
	s_addc_u32 s34, 0, s34
	s_add_u32 s28, s28, s31
	s_mul_hi_u32 s27, s30, s26
	s_addc_u32 s28, s34, s29
	s_addc_u32 s27, s27, 0
	s_mul_i32 s26, s30, s26
	s_add_u32 s26, s28, s26
	s_addc_u32 s28, 0, s27
	s_add_u32 s31, s33, s26
	s_cselect_b64 s[26:27], -1, 0
	s_cmp_lg_u64 s[26:27], 0
	s_addc_u32 s30, s30, s28
	s_ashr_i32 s26, s3, 31
	s_add_u32 s28, s2, s26
	s_mov_b32 s27, s26
	s_addc_u32 s29, s3, s26
	s_xor_b64 s[28:29], s[28:29], s[26:27]
	s_mul_i32 s33, s28, s30
	s_mul_hi_u32 s34, s28, s31
	s_mul_hi_u32 s3, s28, s30
	s_add_u32 s33, s34, s33
	s_addc_u32 s3, 0, s3
	s_mul_hi_u32 s35, s29, s31
	s_mul_i32 s31, s29, s31
	s_add_u32 s31, s33, s31
	s_mul_hi_u32 s34, s29, s30
	s_addc_u32 s3, s3, s35
	s_addc_u32 s31, s34, 0
	s_mul_i32 s30, s29, s30
	s_add_u32 s3, s3, s30
	s_addc_u32 s33, 0, s31
	s_mul_i32 s30, s24, s33
	s_mul_hi_u32 s31, s24, s3
	s_add_i32 s30, s31, s30
	s_mul_i32 s31, s25, s3
	s_add_i32 s36, s30, s31
	s_sub_i32 s34, s29, s36
	s_mul_i32 s30, s24, s3
	s_sub_u32 s28, s28, s30
	s_cselect_b64 s[30:31], -1, 0
	s_cmp_lg_u64 s[30:31], 0
	s_subb_u32 s37, s34, s25
	s_sub_u32 s38, s28, s24
	s_cselect_b64 s[34:35], -1, 0
	s_cmp_lg_u64 s[34:35], 0
	s_subb_u32 s34, s37, 0
	s_cmp_ge_u32 s34, s25
	s_cselect_b32 s35, -1, 0
	s_cmp_ge_u32 s38, s24
	s_cselect_b32 s37, -1, 0
	s_cmp_eq_u32 s34, s25
	s_cselect_b32 s34, s37, s35
	s_add_u32 s35, s3, 1
	s_addc_u32 s37, s33, 0
	s_add_u32 s38, s3, 2
	s_addc_u32 s39, s33, 0
	s_cmp_lg_u32 s34, 0
	s_cselect_b32 s34, s38, s35
	s_cselect_b32 s35, s39, s37
	s_cmp_lg_u64 s[30:31], 0
	s_subb_u32 s29, s29, s36
	s_cmp_ge_u32 s29, s25
	s_cselect_b32 s30, -1, 0
	s_cmp_ge_u32 s28, s24
	s_cselect_b32 s24, -1, 0
	s_cmp_eq_u32 s29, s25
	s_cselect_b32 s24, s24, s30
	s_cmp_lg_u32 s24, 0
	s_cselect_b32 s25, s35, s33
	s_cselect_b32 s24, s34, s3
	s_xor_b64 s[0:1], s[26:27], s[0:1]
	s_xor_b64 s[24:25], s[24:25], s[0:1]
	s_sub_u32 s0, s24, s0
	s_cbranch_execnz .LBB9_6
.LBB9_5:
	v_rcp_iflag_f32_e32 v3, v2
	s_sub_i32 s0, 0, s14
	v_mul_f32_e32 v3, 0x4f7ffffe, v3
	v_cvt_u32_f32_e32 v3, v3
	v_readfirstlane_b32 s1, v3
	s_mul_i32 s0, s0, s1
	s_mul_hi_u32 s0, s1, s0
	s_add_i32 s1, s1, s0
	s_mul_hi_u32 s0, s2, s1
	s_mul_i32 s3, s0, s14
	s_sub_i32 s2, s2, s3
	s_add_i32 s1, s0, 1
	s_sub_i32 s3, s2, s14
	s_cmp_ge_u32 s2, s14
	s_cselect_b32 s0, s1, s0
	s_cselect_b32 s2, s3, s2
	s_add_i32 s1, s0, 1
	s_cmp_ge_u32 s2, s14
	s_cselect_b32 s0, s1, s0
.LBB9_6:
	s_add_u32 s1, s8, 1
	s_addc_u32 s2, s21, 0
	s_mul_i32 s3, s1, s17
	s_mul_hi_u32 s8, s1, s16
	s_add_i32 s3, s8, s3
	s_mul_i32 s2, s2, s16
	s_add_i32 s3, s3, s2
	s_mul_i32 s1, s1, s16
	s_add_u32 s2, s1, -1
	s_addc_u32 s3, s3, -1
	s_or_b64 s[22:23], s[2:3], s[14:15]
	s_mov_b32 s22, 0
	s_cmp_lg_u64 s[22:23], 0
	s_mov_b64 s[22:23], -1
	s_cbranch_scc0 .LBB9_88
; %bb.7:
	s_ashr_i32 s24, s15, 31
	s_add_u32 s22, s14, s24
	s_mov_b32 s25, s24
	s_addc_u32 s23, s15, s24
	s_xor_b64 s[26:27], s[22:23], s[24:25]
	v_cvt_f32_u32_e32 v3, s26
	v_cvt_f32_u32_e32 v4, s27
	s_sub_u32 s1, 0, s26
	s_subb_u32 s8, 0, s27
	v_madmk_f32 v3, v4, 0x4f800000, v3
	v_rcp_f32_e32 v3, v3
	v_mul_f32_e32 v3, 0x5f7ffffc, v3
	v_mul_f32_e32 v4, 0x2f800000, v3
	v_trunc_f32_e32 v4, v4
	v_madmk_f32 v3, v4, 0xcf800000, v3
	v_cvt_u32_f32_e32 v4, v4
	v_cvt_u32_f32_e32 v3, v3
	v_readfirstlane_b32 s21, v4
	v_readfirstlane_b32 s28, v3
	s_mul_i32 s29, s1, s21
	s_mul_hi_u32 s31, s1, s28
	s_mul_i32 s30, s8, s28
	s_add_i32 s29, s31, s29
	s_add_i32 s29, s29, s30
	s_mul_i32 s33, s1, s28
	s_mul_i32 s31, s28, s29
	s_mul_hi_u32 s34, s28, s33
	s_mul_hi_u32 s30, s28, s29
	s_add_u32 s31, s34, s31
	s_addc_u32 s30, 0, s30
	s_mul_hi_u32 s35, s21, s33
	s_mul_i32 s33, s21, s33
	s_add_u32 s31, s31, s33
	s_mul_hi_u32 s34, s21, s29
	s_addc_u32 s30, s30, s35
	s_addc_u32 s31, s34, 0
	s_mul_i32 s29, s21, s29
	s_add_u32 s29, s30, s29
	s_addc_u32 s30, 0, s31
	s_add_u32 s31, s28, s29
	s_cselect_b64 s[28:29], -1, 0
	s_cmp_lg_u64 s[28:29], 0
	s_addc_u32 s21, s21, s30
	s_mul_i32 s28, s1, s21
	s_mul_hi_u32 s29, s1, s31
	s_add_i32 s28, s29, s28
	s_mul_i32 s8, s8, s31
	s_add_i32 s28, s28, s8
	s_mul_i32 s1, s1, s31
	s_mul_hi_u32 s29, s21, s1
	s_mul_i32 s30, s21, s1
	s_mul_i32 s34, s31, s28
	s_mul_hi_u32 s1, s31, s1
	s_mul_hi_u32 s33, s31, s28
	s_add_u32 s1, s1, s34
	s_addc_u32 s33, 0, s33
	s_add_u32 s1, s1, s30
	s_mul_hi_u32 s8, s21, s28
	s_addc_u32 s1, s33, s29
	s_addc_u32 s8, s8, 0
	s_mul_i32 s28, s21, s28
	s_add_u32 s1, s1, s28
	s_addc_u32 s8, 0, s8
	s_add_u32 s1, s31, s1
	s_cselect_b64 s[28:29], -1, 0
	s_cmp_lg_u64 s[28:29], 0
	s_addc_u32 s8, s21, s8
	s_ashr_i32 s28, s3, 31
	s_add_u32 s30, s2, s28
	s_mov_b32 s29, s28
	s_addc_u32 s31, s3, s28
	s_xor_b64 s[30:31], s[30:31], s[28:29]
	s_mul_i32 s21, s30, s8
	s_mul_hi_u32 s33, s30, s1
	s_mul_hi_u32 s3, s30, s8
	s_add_u32 s21, s33, s21
	s_addc_u32 s3, 0, s3
	s_mul_hi_u32 s34, s31, s1
	s_mul_i32 s1, s31, s1
	s_add_u32 s1, s21, s1
	s_mul_hi_u32 s33, s31, s8
	s_addc_u32 s1, s3, s34
	s_addc_u32 s3, s33, 0
	s_mul_i32 s8, s31, s8
	s_add_u32 s1, s1, s8
	s_addc_u32 s3, 0, s3
	s_mul_i32 s8, s26, s3
	s_mul_hi_u32 s21, s26, s1
	s_add_i32 s8, s21, s8
	s_mul_i32 s21, s27, s1
	s_add_i32 s8, s8, s21
	s_sub_i32 s21, s31, s8
	s_mul_i32 s33, s26, s1
	s_sub_u32 s30, s30, s33
	s_cselect_b64 s[34:35], -1, 0
	s_cmp_lg_u64 s[34:35], 0
	s_subb_u32 s21, s21, s27
	s_sub_u32 s33, s30, s26
	s_cselect_b64 s[36:37], -1, 0
	s_cmp_lg_u64 s[36:37], 0
	s_subb_u32 s21, s21, 0
	s_cmp_ge_u32 s21, s27
	s_cselect_b32 s36, -1, 0
	s_cmp_ge_u32 s33, s26
	s_cselect_b32 s33, -1, 0
	s_cmp_eq_u32 s21, s27
	s_cselect_b32 s21, s33, s36
	s_add_u32 s33, s1, 1
	s_addc_u32 s36, s3, 0
	s_add_u32 s37, s1, 2
	s_addc_u32 s38, s3, 0
	s_cmp_lg_u32 s21, 0
	s_cselect_b32 s21, s37, s33
	s_cselect_b32 s33, s38, s36
	s_cmp_lg_u64 s[34:35], 0
	s_subb_u32 s8, s31, s8
	s_cmp_ge_u32 s8, s27
	s_cselect_b32 s31, -1, 0
	s_cmp_ge_u32 s30, s26
	s_cselect_b32 s26, -1, 0
	s_cmp_eq_u32 s8, s27
	s_cselect_b32 s8, s26, s31
	s_cmp_lg_u32 s8, 0
	s_cselect_b32 s27, s33, s3
	s_cselect_b32 s26, s21, s1
	s_xor_b64 s[24:25], s[28:29], s[24:25]
	s_xor_b64 s[26:27], s[26:27], s[24:25]
	s_sub_u32 s24, s26, s24
	s_load_dword s21, s[4:5], 0x3c
	s_cbranch_execnz .LBB9_9
.LBB9_8:
	v_rcp_iflag_f32_e32 v2, v2
	s_sub_i32 s1, 0, s14
	v_mul_f32_e32 v2, 0x4f7ffffe, v2
	v_cvt_u32_f32_e32 v2, v2
	v_readfirstlane_b32 s3, v2
	s_mul_i32 s1, s1, s3
	s_mul_hi_u32 s1, s3, s1
	s_add_i32 s3, s3, s1
	s_mul_hi_u32 s1, s2, s3
	s_mul_i32 s8, s1, s14
	s_sub_i32 s2, s2, s8
	s_add_i32 s3, s1, 1
	s_sub_i32 s8, s2, s14
	s_cmp_ge_u32 s2, s14
	s_cselect_b32 s1, s3, s1
	s_cselect_b32 s2, s8, s2
	s_add_i32 s3, s1, 1
	s_cmp_ge_u32 s2, s14
	s_cselect_b32 s24, s3, s1
.LBB9_9:
	s_waitcnt lgkmcnt(0)
	s_lshr_b32 s22, s21, 16
	s_mul_i32 s7, s7, s22
	v_add_u32_e32 v27, s7, v1
	v_cmp_gt_i32_e32 vcc, s9, v27
	s_and_saveexec_b64 s[2:3], vcc
	s_cbranch_execz .LBB9_85
; %bb.10:
	s_mul_i32 s6, s6, s16
	s_add_i32 s8, s0, s6
	s_load_dword s64, s[4:5], 0x34
	s_load_dwordx4 s[0:3], s[4:5], 0x0
	s_mul_i32 s6, s10, s9
	s_mul_hi_i32 s4, s10, s9
	s_mul_i32 s5, s6, s19
	s_mul_hi_u32 s7, s6, s18
	s_add_i32 s5, s7, s5
	s_mul_i32 s4, s4, s18
	s_add_i32 s5, s5, s4
	s_mul_i32 s4, s6, s18
	s_add_i32 s33, s24, 1
	s_ashr_i32 s54, s9, 31
	s_ashr_i32 s56, s10, 31
	s_lshl_b64 s[4:5], s[4:5], 2
	s_waitcnt lgkmcnt(0)
	s_add_u32 s58, s0, s4
	s_mul_i32 s0, s11, s20
	s_addc_u32 s59, s1, s5
	s_add_i32 s0, s0, s8
	s_mul_i32 s4, s13, s12
	s_and_b32 s11, s21, 0xffff
	s_ashr_i32 s60, s12, 31
	s_ashr_i32 s61, s13, 31
	s_mul_i32 s0, s4, s0
	s_cmp_gt_i32 s33, s8
	s_cselect_b64 s[18:19], -1, 0
	s_ashr_i32 s1, s0, 31
	s_ashr_i32 s5, s4, 31
	s_lshl_b64 s[0:1], s[0:1], 2
	s_add_u32 s20, s2, s0
	s_addc_u32 s21, s3, s1
	s_ashr_i32 s62, s9, 31
	s_add_i32 s0, s9, s62
	s_xor_b32 s63, s0, s62
	s_mov_b32 s55, s9
	v_cvt_f32_u32_e32 v1, s63
	v_cvt_f32_u32_e32 v2, s55
	s_sub_i32 s2, 0, s63
	s_mov_b32 s57, s10
	v_rcp_iflag_f32_e32 v1, v1
	v_rcp_iflag_f32_e32 v2, v2
	s_mul_i32 s64, s64, s22
	s_mov_b32 s65, s12
	v_mul_f32_e32 v1, 0x4f7ffffe, v1
	v_cvt_u32_f32_e32 v3, v1
	v_mul_f32_e32 v1, 0x4f7ffffe, v2
	v_cvt_u32_f32_e32 v2, v1
	v_cmp_gt_i32_e64 s[0:1], s10, v0
	v_mul_lo_u32 v1, s2, v3
	s_sub_i32 s2, 0, s9
	v_mul_lo_u32 v4, s2, v2
	s_mov_b32 s66, s13
	v_mul_hi_u32 v5, v3, v1
	s_lshl_b64 s[22:23], s[4:5], 2
	v_mul_hi_u32 v4, v2, v4
	s_mov_b64 s[24:25], 0
	v_mov_b32_e32 v1, 0
	s_mov_b32 s26, 0
	v_add_u32_e32 v28, v3, v5
	v_add_u32_e32 v29, v2, v4
	s_ashr_i32 s28, s54, 31
	s_branch .LBB9_12
.LBB9_11:                               ;   in Loop: Header=BB9_12 Depth=1
	s_or_b64 exec, exec, s[30:31]
	v_add_u32_e32 v27, s64, v27
	v_cmp_le_i32_e32 vcc, s9, v27
	s_or_b64 s[24:25], vcc, s[24:25]
	s_andn2_b64 exec, exec, s[24:25]
	s_cbranch_execz .LBB9_85
.LBB9_12:                               ; =>This Loop Header: Depth=1
                                        ;     Child Loop BB9_27 Depth 2
                                        ;       Child Loop BB9_42 Depth 3
                                        ;         Child Loop BB9_56 Depth 4
                                        ;           Child Loop BB9_71 Depth 5
	v_ashrrev_i32_e32 v8, 31, v27
	v_or_b32_e32 v2, s54, v8
	v_cmp_ne_u64_e32 vcc, 0, v[1:2]
                                        ; implicit-def: $vgpr5_vgpr6
	s_and_saveexec_b64 s[2:3], vcc
	s_xor_b64 s[2:3], exec, s[2:3]
	s_cbranch_execz .LBB9_14
; %bb.13:                               ;   in Loop: Header=BB9_12 Depth=1
	v_ashrrev_i32_e32 v2, 31, v27
	v_add_u32_e32 v3, v27, v2
	v_xor_b32_e32 v3, v3, v2
	v_mul_hi_u32 v4, v3, v28
	v_xor_b32_e32 v2, s62, v2
	v_mul_lo_u32 v5, v4, s63
	v_add_u32_e32 v6, 1, v4
	v_sub_u32_e32 v3, v3, v5
	v_subrev_u32_e32 v5, s63, v3
	v_cmp_le_u32_e32 vcc, s63, v3
	v_cndmask_b32_e32 v3, v3, v5, vcc
	v_cndmask_b32_e32 v4, v4, v6, vcc
	v_add_u32_e32 v5, 1, v4
	v_cmp_le_u32_e32 vcc, s63, v3
	v_cndmask_b32_e32 v3, v4, v5, vcc
	v_xor_b32_e32 v3, v3, v2
	v_sub_u32_e32 v5, v3, v2
	v_ashrrev_i32_e32 v6, 31, v5
.LBB9_14:                               ;   in Loop: Header=BB9_12 Depth=1
	s_andn2_saveexec_b64 s[2:3], s[2:3]
	s_cbranch_execz .LBB9_16
; %bb.15:                               ;   in Loop: Header=BB9_12 Depth=1
	v_mul_hi_u32 v2, v27, v29
	v_mov_b32_e32 v6, v1
	v_mul_lo_u32 v3, v2, s55
	v_add_u32_e32 v4, 1, v2
	v_sub_u32_e32 v3, v27, v3
	v_subrev_u32_e32 v5, s55, v3
	v_cmp_le_u32_e32 vcc, s55, v3
	v_cndmask_b32_e32 v3, v3, v5, vcc
	v_cndmask_b32_e32 v2, v2, v4, vcc
	v_add_u32_e32 v4, 1, v2
	v_cmp_le_u32_e32 vcc, s55, v3
	v_cndmask_b32_e32 v5, v2, v4, vcc
.LBB9_16:                               ;   in Loop: Header=BB9_12 Depth=1
	s_or_b64 exec, exec, s[2:3]
	v_mul_lo_u32 v4, v6, s55
	v_mul_lo_u32 v6, v5, s54
	v_mad_u64_u32 v[2:3], s[2:3], v5, s55, 0
	v_add3_u32 v3, v3, v6, v4
	v_sub_co_u32_e32 v2, vcc, v27, v2
	v_subb_co_u32_e32 v3, vcc, v8, v3, vcc
	v_mul_lo_u32 v6, v3, s65
	v_mul_lo_u32 v7, v2, s60
	v_mad_u64_u32 v[3:4], s[2:3], v2, s65, 0
	v_add3_u32 v4, v4, v7, v6
	v_or_b32_e32 v2, s54, v4
	v_cmp_ne_u64_e32 vcc, 0, v[1:2]
                                        ; implicit-def: $vgpr6_vgpr7
	s_and_saveexec_b64 s[2:3], vcc
	s_xor_b64 s[4:5], exec, s[2:3]
	s_cbranch_execz .LBB9_18
; %bb.17:                               ;   in Loop: Header=BB9_12 Depth=1
	s_add_u32 s2, s55, s28
	s_mov_b32 s29, s28
	s_addc_u32 s3, s54, s28
	s_xor_b64 s[6:7], s[2:3], s[28:29]
	v_cvt_f32_u32_e32 v2, s6
	v_cvt_f32_u32_e32 v6, s7
	s_sub_u32 s27, 0, s6
	s_subb_u32 s29, 0, s7
	v_ashrrev_i32_e32 v9, 31, v4
	v_mac_f32_e32 v2, 0x4f800000, v6
	v_rcp_f32_e32 v2, v2
	v_mul_f32_e32 v2, 0x5f7ffffc, v2
	v_mul_f32_e32 v6, 0x2f800000, v2
	v_trunc_f32_e32 v6, v6
	v_mac_f32_e32 v2, 0xcf800000, v6
	v_cvt_u32_f32_e32 v6, v6
	v_cvt_u32_f32_e32 v2, v2
	v_readfirstlane_b32 s30, v6
	v_readfirstlane_b32 s2, v2
	s_mul_i32 s3, s27, s30
	s_mul_hi_u32 s34, s27, s2
	s_mul_i32 s31, s29, s2
	s_add_i32 s3, s34, s3
	s_add_i32 s3, s3, s31
	s_mul_i32 s35, s27, s2
	s_mul_i32 s34, s2, s3
	s_mul_hi_u32 s36, s2, s35
	s_mul_hi_u32 s31, s2, s3
	s_add_u32 s34, s36, s34
	s_addc_u32 s31, 0, s31
	s_mul_hi_u32 s37, s30, s35
	s_mul_i32 s35, s30, s35
	s_add_u32 s34, s34, s35
	s_mul_hi_u32 s36, s30, s3
	s_addc_u32 s31, s31, s37
	s_addc_u32 s34, s36, 0
	s_mul_i32 s3, s30, s3
	s_add_u32 s3, s31, s3
	s_addc_u32 s31, 0, s34
	s_add_u32 s34, s2, s3
	s_cselect_b64 s[2:3], -1, 0
	s_cmp_lg_u64 s[2:3], 0
	s_addc_u32 s30, s30, s31
	s_mul_i32 s2, s27, s30
	s_mul_hi_u32 s3, s27, s34
	s_add_i32 s2, s3, s2
	s_mul_i32 s29, s29, s34
	s_add_i32 s2, s2, s29
	s_mul_i32 s27, s27, s34
	s_mul_hi_u32 s29, s30, s27
	s_mul_i32 s31, s30, s27
	s_mul_i32 s36, s34, s2
	s_mul_hi_u32 s27, s34, s27
	s_mul_hi_u32 s35, s34, s2
	s_add_u32 s27, s27, s36
	s_addc_u32 s35, 0, s35
	s_add_u32 s27, s27, s31
	s_mul_hi_u32 s3, s30, s2
	s_addc_u32 s27, s35, s29
	s_addc_u32 s3, s3, 0
	s_mul_i32 s2, s30, s2
	s_add_u32 s2, s27, s2
	s_addc_u32 s27, 0, s3
	s_add_u32 s29, s34, s2
	s_cselect_b64 s[2:3], -1, 0
	s_cmp_lg_u64 s[2:3], 0
	v_add_co_u32_e32 v2, vcc, v3, v9
	s_addc_u32 s27, s30, s27
	v_xor_b32_e32 v10, v2, v9
	v_mad_u64_u32 v[2:3], s[2:3], v10, s27, 0
	v_mul_hi_u32 v6, v10, s29
	v_addc_co_u32_e32 v4, vcc, v4, v9, vcc
	v_xor_b32_e32 v4, v4, v9
	v_add_co_u32_e32 v11, vcc, v6, v2
	v_addc_co_u32_e32 v12, vcc, 0, v3, vcc
	v_mad_u64_u32 v[2:3], s[2:3], v4, s29, 0
	v_mad_u64_u32 v[6:7], s[2:3], v4, s27, 0
	v_add_co_u32_e32 v2, vcc, v11, v2
	v_addc_co_u32_e32 v2, vcc, v12, v3, vcc
	v_addc_co_u32_e32 v3, vcc, 0, v7, vcc
	v_add_co_u32_e32 v6, vcc, v2, v6
	v_addc_co_u32_e32 v2, vcc, 0, v3, vcc
	v_mul_lo_u32 v7, s7, v6
	v_mul_lo_u32 v11, s6, v2
	v_mad_u64_u32 v[2:3], s[2:3], s6, v6, 0
	v_add3_u32 v3, v3, v11, v7
	v_sub_u32_e32 v7, v4, v3
	v_mov_b32_e32 v11, s7
	v_sub_co_u32_e32 v2, vcc, v10, v2
	v_subb_co_u32_e64 v7, s[2:3], v7, v11, vcc
	v_subrev_co_u32_e64 v10, s[2:3], s6, v2
	v_subbrev_co_u32_e64 v7, s[2:3], 0, v7, s[2:3]
	v_cmp_le_u32_e64 s[2:3], s7, v7
	v_subb_co_u32_e32 v3, vcc, v4, v3, vcc
	v_cndmask_b32_e64 v11, 0, -1, s[2:3]
	v_cmp_le_u32_e64 s[2:3], s6, v10
	v_cmp_le_u32_e32 vcc, s7, v3
	v_cndmask_b32_e64 v10, 0, -1, s[2:3]
	v_cmp_eq_u32_e64 s[2:3], s7, v7
	v_cndmask_b32_e64 v4, 0, -1, vcc
	v_cmp_le_u32_e32 vcc, s6, v2
	v_cndmask_b32_e64 v7, v11, v10, s[2:3]
	v_cndmask_b32_e64 v2, 0, -1, vcc
	v_cmp_eq_u32_e32 vcc, s7, v3
	v_add_co_u32_e64 v10, s[2:3], 2, v6
	v_add_co_u32_e64 v11, s[2:3], 1, v6
	v_cndmask_b32_e32 v2, v4, v2, vcc
	v_cmp_ne_u32_e32 vcc, 0, v7
	v_cndmask_b32_e32 v3, v11, v10, vcc
	v_cmp_ne_u32_e32 vcc, 0, v2
	v_cndmask_b32_e32 v2, v6, v3, vcc
	v_xor_b32_e32 v3, s28, v9
	v_xor_b32_e32 v2, v2, v3
	v_sub_co_u32_e32 v6, vcc, v2, v3
                                        ; implicit-def: $vgpr3_vgpr4
.LBB9_18:                               ;   in Loop: Header=BB9_12 Depth=1
	s_andn2_saveexec_b64 s[2:3], s[4:5]
	s_cbranch_execz .LBB9_20
; %bb.19:                               ;   in Loop: Header=BB9_12 Depth=1
	v_mul_hi_u32 v2, v3, v29
	v_mul_lo_u32 v4, v2, s55
	v_add_u32_e32 v6, 1, v2
	v_sub_u32_e32 v3, v3, v4
	v_subrev_u32_e32 v4, s55, v3
	v_cmp_le_u32_e32 vcc, s55, v3
	v_cndmask_b32_e32 v3, v3, v4, vcc
	v_cndmask_b32_e32 v2, v2, v6, vcc
	v_add_u32_e32 v4, 1, v2
	v_cmp_le_u32_e32 vcc, s55, v3
	v_cndmask_b32_e32 v6, v2, v4, vcc
.LBB9_20:                               ;   in Loop: Header=BB9_12 Depth=1
	s_or_b64 exec, exec, s[2:3]
	v_add_co_u32_e32 v2, vcc, 1, v27
	v_addc_co_u32_e32 v3, vcc, 0, v8, vcc
	v_mul_lo_u32 v7, v2, s60
	v_mul_lo_u32 v8, v3, s65
	v_mad_u64_u32 v[3:4], s[2:3], v2, s65, -1
	v_add3_u32 v4, v8, v4, v7
	v_or_b32_e32 v2, s54, v4
	v_cmp_ne_u64_e32 vcc, 0, v[1:2]
                                        ; implicit-def: $vgpr7_vgpr8
	s_and_saveexec_b64 s[2:3], vcc
	s_xor_b64 s[4:5], exec, s[2:3]
	s_cbranch_execnz .LBB9_23
; %bb.21:                               ;   in Loop: Header=BB9_12 Depth=1
	s_andn2_saveexec_b64 s[2:3], s[4:5]
	s_cbranch_execnz .LBB9_24
.LBB9_22:                               ;   in Loop: Header=BB9_12 Depth=1
	s_or_b64 exec, exec, s[2:3]
	s_and_saveexec_b64 s[30:31], s[0:1]
	s_cbranch_execz .LBB9_11
	s_branch .LBB9_25
.LBB9_23:                               ;   in Loop: Header=BB9_12 Depth=1
	s_add_u32 s2, s55, s28
	s_mov_b32 s29, s28
	s_addc_u32 s3, s54, s28
	s_xor_b64 s[6:7], s[2:3], s[28:29]
	v_cvt_f32_u32_e32 v2, s6
	v_cvt_f32_u32_e32 v7, s7
	s_sub_u32 s27, 0, s6
	s_subb_u32 s29, 0, s7
	v_ashrrev_i32_e32 v9, 31, v4
	v_mac_f32_e32 v2, 0x4f800000, v7
	v_rcp_f32_e32 v2, v2
	v_mul_f32_e32 v2, 0x5f7ffffc, v2
	v_mul_f32_e32 v7, 0x2f800000, v2
	v_trunc_f32_e32 v7, v7
	v_mac_f32_e32 v2, 0xcf800000, v7
	v_cvt_u32_f32_e32 v7, v7
	v_cvt_u32_f32_e32 v2, v2
	v_readfirstlane_b32 s30, v7
	v_readfirstlane_b32 s2, v2
	s_mul_i32 s3, s27, s30
	s_mul_hi_u32 s34, s27, s2
	s_mul_i32 s31, s29, s2
	s_add_i32 s3, s34, s3
	s_add_i32 s3, s3, s31
	s_mul_i32 s35, s27, s2
	s_mul_i32 s34, s2, s3
	s_mul_hi_u32 s36, s2, s35
	s_mul_hi_u32 s31, s2, s3
	s_add_u32 s34, s36, s34
	s_addc_u32 s31, 0, s31
	s_mul_hi_u32 s37, s30, s35
	s_mul_i32 s35, s30, s35
	s_add_u32 s34, s34, s35
	s_mul_hi_u32 s36, s30, s3
	s_addc_u32 s31, s31, s37
	s_addc_u32 s34, s36, 0
	s_mul_i32 s3, s30, s3
	s_add_u32 s3, s31, s3
	s_addc_u32 s31, 0, s34
	s_add_u32 s34, s2, s3
	s_cselect_b64 s[2:3], -1, 0
	s_cmp_lg_u64 s[2:3], 0
	s_addc_u32 s30, s30, s31
	s_mul_i32 s2, s27, s30
	s_mul_hi_u32 s3, s27, s34
	s_add_i32 s2, s3, s2
	s_mul_i32 s29, s29, s34
	s_add_i32 s2, s2, s29
	s_mul_i32 s27, s27, s34
	s_mul_hi_u32 s29, s30, s27
	s_mul_i32 s31, s30, s27
	s_mul_i32 s36, s34, s2
	s_mul_hi_u32 s27, s34, s27
	s_mul_hi_u32 s35, s34, s2
	s_add_u32 s27, s27, s36
	s_addc_u32 s35, 0, s35
	s_add_u32 s27, s27, s31
	s_mul_hi_u32 s3, s30, s2
	s_addc_u32 s27, s35, s29
	s_addc_u32 s3, s3, 0
	s_mul_i32 s2, s30, s2
	s_add_u32 s2, s27, s2
	s_addc_u32 s27, 0, s3
	s_add_u32 s29, s34, s2
	s_cselect_b64 s[2:3], -1, 0
	s_cmp_lg_u64 s[2:3], 0
	v_add_co_u32_e32 v2, vcc, v3, v9
	s_addc_u32 s27, s30, s27
	v_xor_b32_e32 v10, v2, v9
	v_mad_u64_u32 v[2:3], s[2:3], v10, s27, 0
	v_mul_hi_u32 v7, v10, s29
	v_addc_co_u32_e32 v4, vcc, v4, v9, vcc
	v_xor_b32_e32 v4, v4, v9
	v_add_co_u32_e32 v11, vcc, v7, v2
	v_addc_co_u32_e32 v12, vcc, 0, v3, vcc
	v_mad_u64_u32 v[2:3], s[2:3], v4, s29, 0
	v_mad_u64_u32 v[7:8], s[2:3], v4, s27, 0
	v_add_co_u32_e32 v2, vcc, v11, v2
	v_addc_co_u32_e32 v2, vcc, v12, v3, vcc
	v_addc_co_u32_e32 v3, vcc, 0, v8, vcc
	v_add_co_u32_e32 v7, vcc, v2, v7
	v_addc_co_u32_e32 v2, vcc, 0, v3, vcc
	v_mul_lo_u32 v8, s7, v7
	v_mul_lo_u32 v11, s6, v2
	v_mad_u64_u32 v[2:3], s[2:3], s6, v7, 0
	v_add3_u32 v3, v3, v11, v8
	v_sub_u32_e32 v8, v4, v3
	v_mov_b32_e32 v11, s7
	v_sub_co_u32_e32 v2, vcc, v10, v2
	v_subb_co_u32_e64 v8, s[2:3], v8, v11, vcc
	v_subrev_co_u32_e64 v10, s[2:3], s6, v2
	v_subbrev_co_u32_e64 v8, s[2:3], 0, v8, s[2:3]
	v_cmp_le_u32_e64 s[2:3], s7, v8
	v_subb_co_u32_e32 v3, vcc, v4, v3, vcc
	v_cndmask_b32_e64 v11, 0, -1, s[2:3]
	v_cmp_le_u32_e64 s[2:3], s6, v10
	v_cmp_le_u32_e32 vcc, s7, v3
	v_cndmask_b32_e64 v10, 0, -1, s[2:3]
	v_cmp_eq_u32_e64 s[2:3], s7, v8
	v_cndmask_b32_e64 v4, 0, -1, vcc
	v_cmp_le_u32_e32 vcc, s6, v2
	v_cndmask_b32_e64 v8, v11, v10, s[2:3]
	v_cndmask_b32_e64 v2, 0, -1, vcc
	v_cmp_eq_u32_e32 vcc, s7, v3
	v_add_co_u32_e64 v10, s[2:3], 2, v7
	v_add_co_u32_e64 v11, s[2:3], 1, v7
	v_cndmask_b32_e32 v2, v4, v2, vcc
	v_cmp_ne_u32_e32 vcc, 0, v8
	v_cndmask_b32_e32 v3, v11, v10, vcc
	v_cmp_ne_u32_e32 vcc, 0, v2
	v_cndmask_b32_e32 v2, v7, v3, vcc
	v_xor_b32_e32 v3, s28, v9
	v_xor_b32_e32 v2, v2, v3
	v_sub_co_u32_e32 v7, vcc, v2, v3
                                        ; implicit-def: $vgpr3_vgpr4
	s_andn2_saveexec_b64 s[2:3], s[4:5]
	s_cbranch_execz .LBB9_22
.LBB9_24:                               ;   in Loop: Header=BB9_12 Depth=1
	v_mul_hi_u32 v2, v3, v29
	v_mul_lo_u32 v4, v2, s55
	v_add_u32_e32 v7, 1, v2
	v_sub_u32_e32 v3, v3, v4
	v_subrev_u32_e32 v4, s55, v3
	v_cmp_le_u32_e32 vcc, s55, v3
	v_cndmask_b32_e32 v3, v3, v4, vcc
	v_cndmask_b32_e32 v2, v2, v7, vcc
	v_add_u32_e32 v4, 1, v2
	v_cmp_le_u32_e32 vcc, s55, v3
	v_cndmask_b32_e32 v7, v2, v4, vcc
	s_or_b64 exec, exec, s[2:3]
	s_and_saveexec_b64 s[30:31], s[0:1]
	s_cbranch_execz .LBB9_11
.LBB9_25:                               ;   in Loop: Header=BB9_12 Depth=1
	v_mul_lo_u32 v8, v27, s10
	v_add_u32_e32 v30, 1, v7
	v_mad_u64_u32 v[3:4], s[2:3], v5, s65, v[6:7]
	v_ashrrev_i32_e32 v9, 31, v8
	v_lshlrev_b64 v[7:8], 2, v[8:9]
	v_mov_b32_e32 v2, s59
	v_mad_u64_u32 v[4:5], s[2:3], s12, v5, v[6:7]
	v_add_co_u32_e32 v31, vcc, s58, v7
	v_addc_co_u32_e32 v32, vcc, v2, v8, vcc
	v_cmp_gt_i32_e64 s[2:3], v30, v3
	s_mov_b64 s[34:35], 0
	v_mov_b32_e32 v5, v0
	s_branch .LBB9_27
.LBB9_26:                               ;   in Loop: Header=BB9_27 Depth=2
	v_add_u32_e32 v5, s11, v5
	v_cmp_le_i32_e32 vcc, s10, v5
	s_or_b64 s[34:35], vcc, s[34:35]
	s_andn2_b64 exec, exec, s[34:35]
	s_cbranch_execz .LBB9_11
.LBB9_27:                               ;   Parent Loop BB9_12 Depth=1
                                        ; =>  This Loop Header: Depth=2
                                        ;       Child Loop BB9_42 Depth 3
                                        ;         Child Loop BB9_56 Depth 4
                                        ;           Child Loop BB9_71 Depth 5
	s_mov_b32 s27, s56
	s_cmp_lg_u64 s[26:27], 0
	v_mov_b32_e32 v6, v1
	s_cselect_b64 s[4:5], -1, 0
                                        ; implicit-def: $vgpr12_vgpr13
	s_and_saveexec_b64 s[6:7], s[4:5]
	s_xor_b64 s[6:7], exec, s[6:7]
	s_cbranch_execz .LBB9_29
; %bb.28:                               ;   in Loop: Header=BB9_27 Depth=2
	s_ashr_i32 s36, s56, 31
	s_add_u32 s4, s57, s36
	s_mov_b32 s37, s36
	s_addc_u32 s5, s56, s36
	s_xor_b64 s[38:39], s[4:5], s[36:37]
	v_cvt_f32_u32_e32 v2, s38
	v_cvt_f32_u32_e32 v7, s39
	s_sub_u32 s27, 0, s38
	s_subb_u32 s29, 0, s39
	v_mac_f32_e32 v2, 0x4f800000, v7
	v_rcp_f32_e32 v2, v2
	v_mul_f32_e32 v2, 0x5f7ffffc, v2
	v_mul_f32_e32 v7, 0x2f800000, v2
	v_trunc_f32_e32 v7, v7
	v_mac_f32_e32 v2, 0xcf800000, v7
	v_cvt_u32_f32_e32 v7, v7
	v_cvt_u32_f32_e32 v2, v2
	v_readfirstlane_b32 s37, v7
	v_readfirstlane_b32 s4, v2
	s_mul_i32 s5, s27, s37
	s_mul_hi_u32 s41, s27, s4
	s_mul_i32 s40, s29, s4
	s_add_i32 s5, s41, s5
	s_add_i32 s5, s5, s40
	s_mul_i32 s42, s27, s4
	s_mul_i32 s41, s4, s5
	s_mul_hi_u32 s43, s4, s42
	s_mul_hi_u32 s40, s4, s5
	s_add_u32 s41, s43, s41
	s_addc_u32 s40, 0, s40
	s_mul_hi_u32 s44, s37, s42
	s_mul_i32 s42, s37, s42
	s_add_u32 s41, s41, s42
	s_mul_hi_u32 s43, s37, s5
	s_addc_u32 s40, s40, s44
	s_addc_u32 s41, s43, 0
	s_mul_i32 s5, s37, s5
	s_add_u32 s5, s40, s5
	s_addc_u32 s40, 0, s41
	s_add_u32 s41, s4, s5
	s_cselect_b64 s[4:5], -1, 0
	s_cmp_lg_u64 s[4:5], 0
	s_addc_u32 s37, s37, s40
	s_mul_i32 s4, s27, s37
	s_mul_hi_u32 s5, s27, s41
	s_add_i32 s4, s5, s4
	s_mul_i32 s29, s29, s41
	s_add_i32 s4, s4, s29
	s_mul_i32 s27, s27, s41
	s_mul_hi_u32 s29, s37, s27
	s_mul_i32 s40, s37, s27
	s_mul_i32 s43, s41, s4
	s_mul_hi_u32 s27, s41, s27
	s_mul_hi_u32 s42, s41, s4
	s_add_u32 s27, s27, s43
	s_addc_u32 s42, 0, s42
	s_add_u32 s27, s27, s40
	s_mul_hi_u32 s5, s37, s4
	s_addc_u32 s27, s42, s29
	s_addc_u32 s5, s5, 0
	s_mul_i32 s4, s37, s4
	s_add_u32 s4, s27, s4
	s_addc_u32 s27, 0, s5
	s_add_u32 s29, s41, s4
	s_cselect_b64 s[4:5], -1, 0
	s_cmp_lg_u64 s[4:5], 0
	s_addc_u32 s27, s37, s27
	v_add_co_u32_e32 v2, vcc, 0, v5
	v_mad_u64_u32 v[7:8], s[4:5], v2, s27, 0
	v_mul_hi_u32 v9, v2, s29
	v_addc_co_u32_e64 v11, s[4:5], 0, 0, vcc
	v_add_co_u32_e32 v12, vcc, v9, v7
	v_addc_co_u32_e32 v13, vcc, 0, v8, vcc
	v_mad_u64_u32 v[7:8], s[4:5], v11, s29, 0
	v_mad_u64_u32 v[9:10], s[4:5], v11, s27, 0
	v_add_co_u32_e32 v7, vcc, v12, v7
	v_addc_co_u32_e32 v7, vcc, v13, v8, vcc
	v_addc_co_u32_e32 v8, vcc, 0, v10, vcc
	v_add_co_u32_e32 v9, vcc, v7, v9
	v_addc_co_u32_e32 v10, vcc, 0, v8, vcc
	v_mul_lo_u32 v12, s39, v9
	v_mul_lo_u32 v13, s38, v10
	v_mad_u64_u32 v[7:8], s[4:5], s38, v9, 0
	v_add3_u32 v8, v8, v13, v12
	v_sub_u32_e32 v12, v11, v8
	v_mov_b32_e32 v13, s39
	v_sub_co_u32_e32 v2, vcc, v2, v7
	v_subb_co_u32_e64 v7, s[4:5], v12, v13, vcc
	v_subrev_co_u32_e64 v12, s[4:5], s38, v2
	v_subbrev_co_u32_e64 v7, s[4:5], 0, v7, s[4:5]
	v_cmp_le_u32_e64 s[4:5], s39, v7
	v_cndmask_b32_e64 v13, 0, -1, s[4:5]
	v_cmp_le_u32_e64 s[4:5], s38, v12
	v_cndmask_b32_e64 v12, 0, -1, s[4:5]
	v_cmp_eq_u32_e64 s[4:5], s39, v7
	v_cndmask_b32_e64 v7, v13, v12, s[4:5]
	v_add_co_u32_e64 v12, s[4:5], 2, v9
	v_subb_co_u32_e32 v8, vcc, v11, v8, vcc
	v_addc_co_u32_e64 v13, s[4:5], 0, v10, s[4:5]
	v_cmp_le_u32_e32 vcc, s39, v8
	v_add_co_u32_e64 v14, s[4:5], 1, v9
	v_cndmask_b32_e64 v11, 0, -1, vcc
	v_cmp_le_u32_e32 vcc, s38, v2
	v_addc_co_u32_e64 v15, s[4:5], 0, v10, s[4:5]
	v_cndmask_b32_e64 v2, 0, -1, vcc
	v_cmp_eq_u32_e32 vcc, s39, v8
	v_cmp_ne_u32_e64 s[4:5], 0, v7
	v_cndmask_b32_e32 v2, v11, v2, vcc
	v_cndmask_b32_e64 v7, v15, v13, s[4:5]
	v_cmp_ne_u32_e32 vcc, 0, v2
	v_cndmask_b32_e32 v2, v10, v7, vcc
	v_cndmask_b32_e64 v7, v14, v12, s[4:5]
	v_cndmask_b32_e32 v7, v9, v7, vcc
	v_xor_b32_e32 v7, s36, v7
	v_xor_b32_e32 v2, s36, v2
	v_mov_b32_e32 v8, s36
	v_subrev_co_u32_e32 v12, vcc, s36, v7
	v_subb_co_u32_e32 v13, vcc, v2, v8, vcc
.LBB9_29:                               ;   in Loop: Header=BB9_27 Depth=2
	s_or_saveexec_b64 s[4:5], s[6:7]
	v_cvt_f32_u32_e32 v11, s57
	s_xor_b64 exec, exec, s[4:5]
	s_cbranch_execz .LBB9_31
; %bb.30:                               ;   in Loop: Header=BB9_27 Depth=2
	v_rcp_iflag_f32_e32 v2, v11
	s_sub_i32 s6, 0, s57
	v_mov_b32_e32 v13, v1
	v_mul_f32_e32 v2, 0x4f7ffffe, v2
	v_cvt_u32_f32_e32 v2, v2
	v_mul_lo_u32 v7, s6, v2
	v_mul_hi_u32 v7, v2, v7
	v_add_u32_e32 v2, v2, v7
	v_mul_hi_u32 v2, v5, v2
	v_mul_lo_u32 v7, v2, s57
	v_add_u32_e32 v8, 1, v2
	v_sub_u32_e32 v7, v5, v7
	v_subrev_u32_e32 v9, s57, v7
	v_cmp_le_u32_e32 vcc, s57, v7
	v_cndmask_b32_e32 v7, v7, v9, vcc
	v_cndmask_b32_e32 v2, v2, v8, vcc
	v_add_u32_e32 v8, 1, v2
	v_cmp_le_u32_e32 vcc, s57, v7
	v_cndmask_b32_e32 v12, v2, v8, vcc
.LBB9_31:                               ;   in Loop: Header=BB9_27 Depth=2
	s_or_b64 exec, exec, s[4:5]
	v_mul_lo_u32 v2, v13, s57
	v_mul_lo_u32 v9, v12, s56
	v_mad_u64_u32 v[7:8], s[4:5], v12, s57, 0
                                        ; implicit-def: $vgpr13_vgpr14
	v_add3_u32 v2, v8, v9, v2
	v_sub_co_u32_e32 v7, vcc, v5, v7
	v_subb_co_u32_e32 v2, vcc, 0, v2, vcc
	v_mul_lo_u32 v2, v2, s66
	v_mul_lo_u32 v9, v7, s61
	v_mad_u64_u32 v[7:8], s[4:5], v7, s66, 0
	v_add3_u32 v8, v8, v9, v2
	v_or_b32_e32 v2, s56, v8
	v_cmp_ne_u64_e32 vcc, 0, v[1:2]
	s_and_saveexec_b64 s[4:5], vcc
	s_xor_b64 s[6:7], exec, s[4:5]
	s_cbranch_execz .LBB9_33
; %bb.32:                               ;   in Loop: Header=BB9_27 Depth=2
	s_ashr_i32 s36, s56, 31
	s_add_u32 s4, s57, s36
	s_mov_b32 s37, s36
	s_addc_u32 s5, s56, s36
	s_xor_b64 s[38:39], s[4:5], s[36:37]
	v_cvt_f32_u32_e32 v2, s38
	v_cvt_f32_u32_e32 v9, s39
	s_sub_u32 s27, 0, s38
	s_subb_u32 s29, 0, s39
	v_mac_f32_e32 v2, 0x4f800000, v9
	v_rcp_f32_e32 v2, v2
	v_mul_f32_e32 v2, 0x5f7ffffc, v2
	v_mul_f32_e32 v9, 0x2f800000, v2
	v_trunc_f32_e32 v9, v9
	v_mac_f32_e32 v2, 0xcf800000, v9
	v_cvt_u32_f32_e32 v9, v9
	v_cvt_u32_f32_e32 v2, v2
	v_readfirstlane_b32 s37, v9
	v_readfirstlane_b32 s4, v2
	s_mul_i32 s5, s27, s37
	s_mul_hi_u32 s41, s27, s4
	s_mul_i32 s40, s29, s4
	s_add_i32 s5, s41, s5
	s_add_i32 s5, s5, s40
	s_mul_i32 s42, s27, s4
	s_mul_i32 s41, s4, s5
	s_mul_hi_u32 s43, s4, s42
	s_mul_hi_u32 s40, s4, s5
	s_add_u32 s41, s43, s41
	s_addc_u32 s40, 0, s40
	s_mul_hi_u32 s44, s37, s42
	s_mul_i32 s42, s37, s42
	s_add_u32 s41, s41, s42
	s_mul_hi_u32 s43, s37, s5
	s_addc_u32 s40, s40, s44
	s_addc_u32 s41, s43, 0
	s_mul_i32 s5, s37, s5
	s_add_u32 s5, s40, s5
	s_addc_u32 s40, 0, s41
	s_add_u32 s41, s4, s5
	s_cselect_b64 s[4:5], -1, 0
	s_cmp_lg_u64 s[4:5], 0
	s_addc_u32 s37, s37, s40
	s_mul_i32 s4, s27, s37
	s_mul_hi_u32 s5, s27, s41
	s_add_i32 s4, s5, s4
	s_mul_i32 s29, s29, s41
	s_add_i32 s4, s4, s29
	s_mul_i32 s27, s27, s41
	s_mul_hi_u32 s29, s37, s27
	s_mul_i32 s40, s37, s27
	s_mul_i32 s43, s41, s4
	s_mul_hi_u32 s27, s41, s27
	s_mul_hi_u32 s42, s41, s4
	s_add_u32 s27, s27, s43
	s_addc_u32 s42, 0, s42
	s_add_u32 s27, s27, s40
	s_mul_hi_u32 s5, s37, s4
	s_addc_u32 s27, s42, s29
	s_addc_u32 s5, s5, 0
	s_mul_i32 s4, s37, s4
	s_add_u32 s4, s27, s4
	s_addc_u32 s27, 0, s5
	s_add_u32 s29, s41, s4
	s_cselect_b64 s[4:5], -1, 0
	v_ashrrev_i32_e32 v2, 31, v8
	s_cmp_lg_u64 s[4:5], 0
	v_add_co_u32_e32 v7, vcc, v7, v2
	s_addc_u32 s27, s37, s27
	v_xor_b32_e32 v13, v7, v2
	v_addc_co_u32_e32 v9, vcc, v8, v2, vcc
	v_mad_u64_u32 v[7:8], s[4:5], v13, s27, 0
	v_mul_hi_u32 v10, v13, s29
	v_xor_b32_e32 v14, v9, v2
	v_xor_b32_e32 v2, s36, v2
	v_add_co_u32_e32 v15, vcc, v10, v7
	v_addc_co_u32_e32 v16, vcc, 0, v8, vcc
	v_mad_u64_u32 v[7:8], s[4:5], v14, s29, 0
	v_mad_u64_u32 v[9:10], s[4:5], v14, s27, 0
	v_add_co_u32_e32 v7, vcc, v15, v7
	v_addc_co_u32_e32 v7, vcc, v16, v8, vcc
	v_addc_co_u32_e32 v8, vcc, 0, v10, vcc
	v_add_co_u32_e32 v9, vcc, v7, v9
	v_addc_co_u32_e32 v7, vcc, 0, v8, vcc
	v_mul_lo_u32 v10, s39, v9
	v_mul_lo_u32 v15, s38, v7
	v_mad_u64_u32 v[7:8], s[4:5], s38, v9, 0
	v_add3_u32 v8, v8, v15, v10
	v_sub_u32_e32 v10, v14, v8
	v_mov_b32_e32 v15, s39
	v_sub_co_u32_e32 v7, vcc, v13, v7
	v_subb_co_u32_e64 v10, s[4:5], v10, v15, vcc
	v_subrev_co_u32_e64 v13, s[4:5], s38, v7
	v_subbrev_co_u32_e64 v10, s[4:5], 0, v10, s[4:5]
	v_cmp_le_u32_e64 s[4:5], s39, v10
	v_subb_co_u32_e32 v8, vcc, v14, v8, vcc
	v_cndmask_b32_e64 v15, 0, -1, s[4:5]
	v_cmp_le_u32_e64 s[4:5], s38, v13
	v_cmp_le_u32_e32 vcc, s39, v8
	v_cndmask_b32_e64 v13, 0, -1, s[4:5]
	v_cmp_eq_u32_e64 s[4:5], s39, v10
	v_cndmask_b32_e64 v14, 0, -1, vcc
	v_cmp_le_u32_e32 vcc, s38, v7
	v_cndmask_b32_e64 v10, v15, v13, s[4:5]
	v_cndmask_b32_e64 v7, 0, -1, vcc
	v_cmp_eq_u32_e32 vcc, s39, v8
	v_add_co_u32_e64 v13, s[4:5], 2, v9
	v_add_co_u32_e64 v15, s[4:5], 1, v9
	v_cndmask_b32_e32 v7, v14, v7, vcc
	v_cmp_ne_u32_e32 vcc, 0, v10
	v_cndmask_b32_e32 v8, v15, v13, vcc
	v_cmp_ne_u32_e32 vcc, 0, v7
	v_cndmask_b32_e32 v7, v9, v8, vcc
	v_xor_b32_e32 v7, v7, v2
	v_sub_co_u32_e32 v13, vcc, v7, v2
                                        ; implicit-def: $vgpr7_vgpr8
.LBB9_33:                               ;   in Loop: Header=BB9_27 Depth=2
	s_andn2_saveexec_b64 s[4:5], s[6:7]
	s_cbranch_execz .LBB9_35
; %bb.34:                               ;   in Loop: Header=BB9_27 Depth=2
	v_rcp_iflag_f32_e32 v2, v11
	s_sub_i32 s6, 0, s57
	v_mul_f32_e32 v2, 0x4f7ffffe, v2
	v_cvt_u32_f32_e32 v2, v2
	v_mul_lo_u32 v8, s6, v2
	v_mul_hi_u32 v8, v2, v8
	v_add_u32_e32 v2, v2, v8
	v_mul_hi_u32 v2, v7, v2
	v_mul_lo_u32 v8, v2, s57
	v_add_u32_e32 v9, 1, v2
	v_sub_u32_e32 v7, v7, v8
	v_subrev_u32_e32 v8, s57, v7
	v_cmp_le_u32_e32 vcc, s57, v7
	v_cndmask_b32_e32 v7, v7, v8, vcc
	v_cndmask_b32_e32 v2, v2, v9, vcc
	v_add_u32_e32 v8, 1, v2
	v_cmp_le_u32_e32 vcc, s57, v7
	v_cndmask_b32_e32 v13, v2, v8, vcc
.LBB9_35:                               ;   in Loop: Header=BB9_27 Depth=2
	s_or_b64 exec, exec, s[4:5]
	v_add_u32_e32 v9, 1, v5
	v_mad_u64_u32 v[7:8], s[4:5], v9, s66, -1
	v_mov_b32_e32 v2, v8
	v_mad_u64_u32 v[8:9], s[4:5], v9, s61, v[2:3]
                                        ; implicit-def: $vgpr9_vgpr10
	v_or_b32_e32 v2, s56, v8
	v_cmp_ne_u64_e32 vcc, 0, v[1:2]
	v_mov_b32_e32 v2, v8
	s_and_saveexec_b64 s[4:5], vcc
	s_xor_b64 s[6:7], exec, s[4:5]
	s_cbranch_execnz .LBB9_38
; %bb.36:                               ;   in Loop: Header=BB9_27 Depth=2
	s_andn2_saveexec_b64 s[4:5], s[6:7]
	s_cbranch_execnz .LBB9_39
.LBB9_37:                               ;   in Loop: Header=BB9_27 Depth=2
	s_or_b64 exec, exec, s[4:5]
	s_andn2_b64 vcc, exec, s[18:19]
	s_cbranch_vccnz .LBB9_26
	s_branch .LBB9_40
.LBB9_38:                               ;   in Loop: Header=BB9_27 Depth=2
	s_ashr_i32 s36, s56, 31
	s_add_u32 s4, s57, s36
	s_mov_b32 s37, s36
	s_addc_u32 s5, s56, s36
	s_xor_b64 s[38:39], s[4:5], s[36:37]
	v_cvt_f32_u32_e32 v8, s38
	v_cvt_f32_u32_e32 v9, s39
	s_sub_u32 s27, 0, s38
	s_subb_u32 s29, 0, s39
	v_ashrrev_i32_e32 v11, 31, v2
	v_mac_f32_e32 v8, 0x4f800000, v9
	v_rcp_f32_e32 v8, v8
	v_add_co_u32_e32 v7, vcc, v7, v11
	v_xor_b32_e32 v14, v7, v11
	v_mul_f32_e32 v8, 0x5f7ffffc, v8
	v_mul_f32_e32 v9, 0x2f800000, v8
	v_trunc_f32_e32 v9, v9
	v_mac_f32_e32 v8, 0xcf800000, v9
	v_cvt_u32_f32_e32 v9, v9
	v_cvt_u32_f32_e32 v8, v8
	v_addc_co_u32_e32 v2, vcc, v2, v11, vcc
	v_readfirstlane_b32 s37, v9
	v_readfirstlane_b32 s4, v8
	s_mul_i32 s5, s27, s37
	s_mul_hi_u32 s41, s27, s4
	s_mul_i32 s40, s29, s4
	s_add_i32 s5, s41, s5
	s_add_i32 s5, s5, s40
	s_mul_i32 s42, s27, s4
	s_mul_i32 s41, s4, s5
	s_mul_hi_u32 s43, s4, s42
	s_mul_hi_u32 s40, s4, s5
	s_add_u32 s41, s43, s41
	s_addc_u32 s40, 0, s40
	s_mul_hi_u32 s44, s37, s42
	s_mul_i32 s42, s37, s42
	s_add_u32 s41, s41, s42
	s_mul_hi_u32 s43, s37, s5
	s_addc_u32 s40, s40, s44
	s_addc_u32 s41, s43, 0
	s_mul_i32 s5, s37, s5
	s_add_u32 s5, s40, s5
	s_addc_u32 s40, 0, s41
	s_add_u32 s41, s4, s5
	s_cselect_b64 s[4:5], -1, 0
	s_cmp_lg_u64 s[4:5], 0
	s_addc_u32 s37, s37, s40
	s_mul_i32 s4, s27, s37
	s_mul_hi_u32 s5, s27, s41
	s_add_i32 s4, s5, s4
	s_mul_i32 s29, s29, s41
	s_add_i32 s4, s4, s29
	s_mul_i32 s27, s27, s41
	s_mul_hi_u32 s29, s37, s27
	s_mul_i32 s40, s37, s27
	s_mul_i32 s43, s41, s4
	s_mul_hi_u32 s27, s41, s27
	s_mul_hi_u32 s42, s41, s4
	s_add_u32 s27, s27, s43
	s_addc_u32 s42, 0, s42
	s_add_u32 s27, s27, s40
	s_mul_hi_u32 s5, s37, s4
	s_addc_u32 s27, s42, s29
	s_addc_u32 s5, s5, 0
	s_mul_i32 s4, s37, s4
	s_add_u32 s4, s27, s4
	s_addc_u32 s27, 0, s5
	s_add_u32 s29, s41, s4
	s_cselect_b64 s[4:5], -1, 0
	s_cmp_lg_u64 s[4:5], 0
	s_addc_u32 s27, s37, s27
	v_mad_u64_u32 v[7:8], s[4:5], v14, s27, 0
	v_mul_hi_u32 v9, v14, s29
	v_xor_b32_e32 v2, v2, v11
	v_add_co_u32_e32 v15, vcc, v9, v7
	v_addc_co_u32_e32 v16, vcc, 0, v8, vcc
	v_mad_u64_u32 v[7:8], s[4:5], v2, s29, 0
	v_mad_u64_u32 v[9:10], s[4:5], v2, s27, 0
	v_add_co_u32_e32 v7, vcc, v15, v7
	v_addc_co_u32_e32 v7, vcc, v16, v8, vcc
	v_addc_co_u32_e32 v8, vcc, 0, v10, vcc
	v_add_co_u32_e32 v9, vcc, v7, v9
	v_addc_co_u32_e32 v7, vcc, 0, v8, vcc
	v_mul_lo_u32 v10, s39, v9
	v_mul_lo_u32 v15, s38, v7
	v_mad_u64_u32 v[7:8], s[4:5], s38, v9, 0
	v_add3_u32 v8, v8, v15, v10
	v_sub_u32_e32 v10, v2, v8
	v_mov_b32_e32 v15, s39
	v_sub_co_u32_e32 v7, vcc, v14, v7
	v_subb_co_u32_e64 v10, s[4:5], v10, v15, vcc
	v_subrev_co_u32_e64 v14, s[4:5], s38, v7
	v_subbrev_co_u32_e64 v10, s[4:5], 0, v10, s[4:5]
	v_cmp_le_u32_e64 s[4:5], s39, v10
	v_subb_co_u32_e32 v2, vcc, v2, v8, vcc
	v_cndmask_b32_e64 v15, 0, -1, s[4:5]
	v_cmp_le_u32_e64 s[4:5], s38, v14
	v_cmp_le_u32_e32 vcc, s39, v2
	v_cndmask_b32_e64 v14, 0, -1, s[4:5]
	v_cmp_eq_u32_e64 s[4:5], s39, v10
	v_cndmask_b32_e64 v8, 0, -1, vcc
	v_cmp_le_u32_e32 vcc, s38, v7
	v_cndmask_b32_e64 v10, v15, v14, s[4:5]
	v_cndmask_b32_e64 v7, 0, -1, vcc
	v_cmp_eq_u32_e32 vcc, s39, v2
	v_add_co_u32_e64 v14, s[4:5], 2, v9
	v_add_co_u32_e64 v15, s[4:5], 1, v9
	v_cndmask_b32_e32 v2, v8, v7, vcc
	v_cmp_ne_u32_e32 vcc, 0, v10
	v_cndmask_b32_e32 v7, v15, v14, vcc
	v_cmp_ne_u32_e32 vcc, 0, v2
	v_cndmask_b32_e32 v2, v9, v7, vcc
	v_xor_b32_e32 v7, s36, v11
	v_xor_b32_e32 v2, v2, v7
	v_sub_co_u32_e32 v9, vcc, v2, v7
                                        ; implicit-def: $vgpr11
                                        ; implicit-def: $vgpr7_vgpr8
	s_andn2_saveexec_b64 s[4:5], s[6:7]
	s_cbranch_execz .LBB9_37
.LBB9_39:                               ;   in Loop: Header=BB9_27 Depth=2
	v_rcp_iflag_f32_e32 v2, v11
	s_sub_i32 s6, 0, s57
	v_mul_f32_e32 v2, 0x4f7ffffe, v2
	v_cvt_u32_f32_e32 v2, v2
	v_mul_lo_u32 v8, s6, v2
	v_mul_hi_u32 v8, v2, v8
	v_add_u32_e32 v2, v2, v8
	v_mul_hi_u32 v2, v7, v2
	v_mul_lo_u32 v8, v2, s57
	v_add_u32_e32 v9, 1, v2
	v_sub_u32_e32 v7, v7, v8
	v_subrev_u32_e32 v8, s57, v7
	v_cmp_le_u32_e32 vcc, s57, v7
	v_cndmask_b32_e32 v7, v7, v8, vcc
	v_cndmask_b32_e32 v2, v2, v9, vcc
	v_add_u32_e32 v8, 1, v2
	v_cmp_le_u32_e32 vcc, s57, v7
	v_cndmask_b32_e32 v9, v2, v8, vcc
	s_or_b64 exec, exec, s[4:5]
	s_andn2_b64 vcc, exec, s[18:19]
	s_cbranch_vccnz .LBB9_26
.LBB9_40:                               ;   in Loop: Header=BB9_27 Depth=2
	v_add_u32_e32 v33, 1, v9
	v_lshlrev_b64 v[8:9], 2, v[5:6]
	v_mad_u64_u32 v[6:7], s[4:5], v12, s66, v[13:14]
	v_add_co_u32_e32 v8, vcc, v31, v8
	v_addc_co_u32_e32 v9, vcc, v32, v9, vcc
	v_ashrrev_i32_e32 v7, 31, v6
	v_add_co_u32_e32 v2, vcc, 1, v6
	v_addc_co_u32_e32 v10, vcc, 0, v7, vcc
	v_mul_lo_u32 v14, s57, v10
	v_mul_lo_u32 v15, s56, v2
	v_mad_u64_u32 v[10:11], s[6:7], s57, v2, -1
	v_add_u32_e32 v2, v4, v12
	v_mad_u64_u32 v[12:13], s[6:7], s13, v2, v[13:14]
	v_cmp_gt_i32_e64 s[4:5], v33, v6
	v_add3_u32 v11, v15, v11, v14
	s_mov_b64 s[36:37], s[20:21]
	s_mov_b32 s38, s8
	s_branch .LBB9_42
.LBB9_41:                               ;   in Loop: Header=BB9_42 Depth=3
	s_or_b64 exec, exec, s[40:41]
	s_add_i32 s38, s38, 1
	s_add_u32 s36, s36, s22
	s_addc_u32 s37, s37, s23
	s_cmp_lt_i32 s38, s33
	s_cbranch_scc0 .LBB9_26
.LBB9_42:                               ;   Parent Loop BB9_12 Depth=1
                                        ;     Parent Loop BB9_27 Depth=2
                                        ; =>    This Loop Header: Depth=3
                                        ;         Child Loop BB9_56 Depth 4
                                        ;           Child Loop BB9_71 Depth 5
	s_ashr_i32 s39, s38, 31
	s_add_u32 s6, s38, 1
	s_addc_u32 s7, s39, 0
	s_mul_i32 s27, s6, s15
	s_mul_hi_u32 s29, s6, s14
	s_add_i32 s27, s29, s27
	s_mul_i32 s7, s7, s14
	s_add_i32 s27, s27, s7
	s_mul_i32 s6, s6, s14
	s_add_u32 s6, s6, -1
	s_addc_u32 s7, s27, -1
	s_or_b64 s[40:41], s[6:7], s[16:17]
	s_mov_b32 s27, s41
	s_cmp_lg_u64 s[26:27], 0
	s_cbranch_scc0 .LBB9_44
; %bb.43:                               ;   in Loop: Header=BB9_42 Depth=3
	s_ashr_i32 s40, s17, 31
	s_add_u32 s42, s16, s40
	s_mov_b32 s41, s40
	s_addc_u32 s43, s17, s40
	s_xor_b64 s[42:43], s[42:43], s[40:41]
	v_cvt_f32_u32_e32 v2, s42
	v_cvt_f32_u32_e32 v13, s43
	s_sub_u32 s27, 0, s42
	s_subb_u32 s29, 0, s43
	v_mac_f32_e32 v2, 0x4f800000, v13
	v_rcp_f32_e32 v2, v2
	v_mul_f32_e32 v2, 0x5f7ffffc, v2
	v_mul_f32_e32 v13, 0x2f800000, v2
	v_trunc_f32_e32 v13, v13
	v_mac_f32_e32 v2, 0xcf800000, v13
	v_cvt_u32_f32_e32 v13, v13
	v_cvt_u32_f32_e32 v2, v2
	v_readfirstlane_b32 s46, v13
	v_readfirstlane_b32 s44, v2
	s_mul_i32 s45, s27, s46
	s_mul_hi_u32 s48, s27, s44
	s_mul_i32 s47, s29, s44
	s_add_i32 s45, s48, s45
	s_add_i32 s45, s45, s47
	s_mul_i32 s49, s27, s44
	s_mul_i32 s48, s44, s45
	s_mul_hi_u32 s50, s44, s49
	s_mul_hi_u32 s47, s44, s45
	s_add_u32 s48, s50, s48
	s_addc_u32 s47, 0, s47
	s_mul_hi_u32 s51, s46, s49
	s_mul_i32 s49, s46, s49
	s_add_u32 s48, s48, s49
	s_mul_hi_u32 s50, s46, s45
	s_addc_u32 s47, s47, s51
	s_addc_u32 s48, s50, 0
	s_mul_i32 s45, s46, s45
	s_add_u32 s45, s47, s45
	s_addc_u32 s47, 0, s48
	s_add_u32 s48, s44, s45
	s_cselect_b64 s[44:45], -1, 0
	s_cmp_lg_u64 s[44:45], 0
	s_addc_u32 s46, s46, s47
	s_mul_i32 s44, s27, s46
	s_mul_hi_u32 s45, s27, s48
	s_add_i32 s44, s45, s44
	s_mul_i32 s29, s29, s48
	s_add_i32 s44, s44, s29
	s_mul_i32 s27, s27, s48
	s_mul_hi_u32 s45, s46, s27
	s_mul_i32 s47, s46, s27
	s_mul_i32 s50, s48, s44
	s_mul_hi_u32 s27, s48, s27
	s_mul_hi_u32 s49, s48, s44
	s_add_u32 s27, s27, s50
	s_addc_u32 s49, 0, s49
	s_add_u32 s27, s27, s47
	s_mul_hi_u32 s29, s46, s44
	s_addc_u32 s27, s49, s45
	s_addc_u32 s29, s29, 0
	s_mul_i32 s44, s46, s44
	s_add_u32 s27, s27, s44
	s_addc_u32 s29, 0, s29
	s_add_u32 s27, s48, s27
	s_cselect_b64 s[44:45], -1, 0
	s_cmp_lg_u64 s[44:45], 0
	s_addc_u32 s29, s46, s29
	s_ashr_i32 s44, s7, 31
	s_add_u32 s46, s6, s44
	s_mov_b32 s45, s44
	s_addc_u32 s47, s7, s44
	s_xor_b64 s[46:47], s[46:47], s[44:45]
	s_mul_i32 s48, s46, s29
	s_mul_hi_u32 s49, s46, s27
	s_mul_hi_u32 s7, s46, s29
	s_add_u32 s48, s49, s48
	s_addc_u32 s7, 0, s7
	s_mul_hi_u32 s50, s47, s27
	s_mul_i32 s27, s47, s27
	s_add_u32 s27, s48, s27
	s_mul_hi_u32 s49, s47, s29
	s_addc_u32 s7, s7, s50
	s_addc_u32 s27, s49, 0
	s_mul_i32 s29, s47, s29
	s_add_u32 s7, s7, s29
	s_addc_u32 s27, 0, s27
	s_mul_i32 s29, s42, s27
	s_mul_hi_u32 s48, s42, s7
	s_add_i32 s29, s48, s29
	s_mul_i32 s48, s43, s7
	s_add_i32 s29, s29, s48
	s_sub_i32 s50, s47, s29
	s_mul_i32 s48, s42, s7
	s_sub_u32 s46, s46, s48
	s_cselect_b64 s[48:49], -1, 0
	s_cmp_lg_u64 s[48:49], 0
	s_subb_u32 s52, s50, s43
	s_sub_u32 s53, s46, s42
	s_cselect_b64 s[50:51], -1, 0
	s_cmp_lg_u64 s[50:51], 0
	s_subb_u32 s50, s52, 0
	s_cmp_ge_u32 s50, s43
	s_cselect_b32 s51, -1, 0
	s_cmp_ge_u32 s53, s42
	s_cselect_b32 s52, -1, 0
	s_cmp_eq_u32 s50, s43
	s_cselect_b32 s50, s52, s51
	s_add_u32 s51, s7, 1
	s_addc_u32 s52, s27, 0
	s_add_u32 s53, s7, 2
	s_addc_u32 s67, s27, 0
	s_cmp_lg_u32 s50, 0
	s_cselect_b32 s50, s53, s51
	s_cselect_b32 s51, s67, s52
	s_cmp_lg_u64 s[48:49], 0
	s_subb_u32 s29, s47, s29
	s_cmp_ge_u32 s29, s43
	s_cselect_b32 s47, -1, 0
	s_cmp_ge_u32 s46, s42
	s_cselect_b32 s42, -1, 0
	s_cmp_eq_u32 s29, s43
	s_cselect_b32 s29, s42, s47
	s_cmp_lg_u32 s29, 0
	s_cselect_b32 s43, s51, s27
	s_cselect_b32 s42, s50, s7
	s_xor_b64 s[40:41], s[44:45], s[40:41]
	s_xor_b64 s[42:43], s[42:43], s[40:41]
	s_sub_u32 s40, s42, s40
	s_subb_u32 s41, s43, s41
	s_mov_b64 s[42:43], 0
	s_branch .LBB9_45
.LBB9_44:                               ;   in Loop: Header=BB9_42 Depth=3
	s_mov_b64 s[42:43], -1
                                        ; implicit-def: $sgpr40_sgpr41
.LBB9_45:                               ;   in Loop: Header=BB9_42 Depth=3
	v_cvt_f32_u32_e32 v2, s16
	s_andn2_b64 vcc, exec, s[42:43]
	v_mov_b32_e32 v13, s40
	v_mov_b32_e32 v14, s41
	v_rcp_iflag_f32_e32 v2, v2
	s_cbranch_vccnz .LBB9_47
; %bb.46:                               ;   in Loop: Header=BB9_42 Depth=3
	v_mul_f32_e32 v13, 0x4f7ffffe, v2
	v_cvt_u32_f32_e32 v13, v13
	s_sub_i32 s7, 0, s16
	v_mul_lo_u32 v14, s7, v13
	v_mul_hi_u32 v14, v13, v14
	v_add_u32_e32 v13, v13, v14
	v_mul_hi_u32 v13, s6, v13
	v_mul_lo_u32 v14, v13, s16
	v_add_u32_e32 v15, 1, v13
	v_sub_u32_e32 v14, s6, v14
	v_subrev_u32_e32 v16, s16, v14
	v_cmp_le_u32_e32 vcc, s16, v14
	v_cndmask_b32_e32 v14, v14, v16, vcc
	v_cndmask_b32_e32 v13, v13, v15, vcc
	v_add_u32_e32 v15, 1, v13
	v_cmp_le_u32_e32 vcc, s16, v14
	v_cndmask_b32_e32 v13, v13, v15, vcc
.LBB9_47:                               ;   in Loop: Header=BB9_42 Depth=3
	s_or_b64 s[6:7], s[38:39], s[16:17]
	s_mov_b32 s27, s7
	s_cmp_lg_u64 s[26:27], 0
	s_cbranch_scc0 .LBB9_83
; %bb.48:                               ;   in Loop: Header=BB9_42 Depth=3
	s_ashr_i32 s6, s17, 31
	s_add_u32 s40, s16, s6
	s_mov_b32 s7, s6
	s_addc_u32 s41, s17, s6
	s_xor_b64 s[40:41], s[40:41], s[6:7]
	v_cvt_f32_u32_e32 v14, s40
	v_cvt_f32_u32_e32 v15, s41
	s_sub_u32 s27, 0, s40
	s_subb_u32 s29, 0, s41
	v_mac_f32_e32 v14, 0x4f800000, v15
	v_rcp_f32_e32 v14, v14
	v_mul_f32_e32 v14, 0x5f7ffffc, v14
	v_mul_f32_e32 v15, 0x2f800000, v14
	v_trunc_f32_e32 v15, v15
	v_mac_f32_e32 v14, 0xcf800000, v15
	v_cvt_u32_f32_e32 v15, v15
	v_cvt_u32_f32_e32 v14, v14
	v_readfirstlane_b32 s44, v15
	v_readfirstlane_b32 s42, v14
	s_mul_i32 s43, s27, s44
	s_mul_hi_u32 s46, s27, s42
	s_mul_i32 s45, s29, s42
	s_add_i32 s43, s46, s43
	s_add_i32 s43, s43, s45
	s_mul_i32 s47, s27, s42
	s_mul_i32 s46, s42, s43
	s_mul_hi_u32 s48, s42, s47
	s_mul_hi_u32 s45, s42, s43
	s_add_u32 s46, s48, s46
	s_addc_u32 s45, 0, s45
	s_mul_hi_u32 s49, s44, s47
	s_mul_i32 s47, s44, s47
	s_add_u32 s46, s46, s47
	s_mul_hi_u32 s48, s44, s43
	s_addc_u32 s45, s45, s49
	s_addc_u32 s46, s48, 0
	s_mul_i32 s43, s44, s43
	s_add_u32 s43, s45, s43
	s_addc_u32 s45, 0, s46
	s_add_u32 s46, s42, s43
	s_cselect_b64 s[42:43], -1, 0
	s_cmp_lg_u64 s[42:43], 0
	s_addc_u32 s44, s44, s45
	s_mul_i32 s42, s27, s44
	s_mul_hi_u32 s43, s27, s46
	s_add_i32 s42, s43, s42
	s_mul_i32 s29, s29, s46
	s_add_i32 s42, s42, s29
	s_mul_i32 s27, s27, s46
	s_mul_hi_u32 s43, s44, s27
	s_mul_i32 s45, s44, s27
	s_mul_i32 s48, s46, s42
	s_mul_hi_u32 s27, s46, s27
	s_mul_hi_u32 s47, s46, s42
	s_add_u32 s27, s27, s48
	s_addc_u32 s47, 0, s47
	s_add_u32 s27, s27, s45
	s_mul_hi_u32 s29, s44, s42
	s_addc_u32 s27, s47, s43
	s_addc_u32 s29, s29, 0
	s_mul_i32 s42, s44, s42
	s_add_u32 s27, s27, s42
	s_addc_u32 s29, 0, s29
	s_add_u32 s27, s46, s27
	s_cselect_b64 s[42:43], -1, 0
	s_cmp_lg_u64 s[42:43], 0
	s_addc_u32 s29, s44, s29
	s_ashr_i32 s42, s39, 31
	s_add_u32 s44, s38, s42
	s_mov_b32 s43, s42
	s_addc_u32 s45, s39, s42
	s_xor_b64 s[44:45], s[44:45], s[42:43]
	s_mul_i32 s47, s44, s29
	s_mul_hi_u32 s48, s44, s27
	s_mul_hi_u32 s46, s44, s29
	s_add_u32 s47, s48, s47
	s_addc_u32 s46, 0, s46
	s_mul_hi_u32 s49, s45, s27
	s_mul_i32 s27, s45, s27
	s_add_u32 s27, s47, s27
	s_mul_hi_u32 s48, s45, s29
	s_addc_u32 s27, s46, s49
	s_addc_u32 s46, s48, 0
	s_mul_i32 s29, s45, s29
	s_add_u32 s27, s27, s29
	s_addc_u32 s29, 0, s46
	s_mul_i32 s46, s40, s29
	s_mul_hi_u32 s47, s40, s27
	s_add_i32 s46, s47, s46
	s_mul_i32 s47, s41, s27
	s_add_i32 s50, s46, s47
	s_sub_i32 s48, s45, s50
	s_mul_i32 s46, s40, s27
	s_sub_u32 s44, s44, s46
	s_cselect_b64 s[46:47], -1, 0
	s_cmp_lg_u64 s[46:47], 0
	s_subb_u32 s51, s48, s41
	s_sub_u32 s52, s44, s40
	s_cselect_b64 s[48:49], -1, 0
	s_cmp_lg_u64 s[48:49], 0
	s_subb_u32 s48, s51, 0
	s_cmp_ge_u32 s48, s41
	s_cselect_b32 s49, -1, 0
	s_cmp_ge_u32 s52, s40
	s_cselect_b32 s51, -1, 0
	s_cmp_eq_u32 s48, s41
	s_cselect_b32 s48, s51, s49
	s_add_u32 s49, s27, 1
	s_addc_u32 s51, s29, 0
	s_add_u32 s52, s27, 2
	s_addc_u32 s53, s29, 0
	s_cmp_lg_u32 s48, 0
	s_cselect_b32 s48, s52, s49
	s_cselect_b32 s49, s53, s51
	s_cmp_lg_u64 s[46:47], 0
	s_subb_u32 s45, s45, s50
	s_cmp_ge_u32 s45, s41
	s_cselect_b32 s46, -1, 0
	s_cmp_ge_u32 s44, s40
	s_cselect_b32 s40, -1, 0
	s_cmp_eq_u32 s45, s41
	s_cselect_b32 s40, s40, s46
	s_cmp_lg_u32 s40, 0
	s_cselect_b32 s41, s49, s29
	s_cselect_b32 s40, s48, s27
	s_xor_b64 s[6:7], s[42:43], s[6:7]
	s_xor_b64 s[40:41], s[40:41], s[6:7]
	s_sub_u32 s6, s40, s6
	s_subb_u32 s7, s41, s7
	s_cbranch_execnz .LBB9_50
.LBB9_49:                               ;   in Loop: Header=BB9_42 Depth=3
	v_mul_f32_e32 v14, 0x4f7ffffe, v2
	v_cvt_u32_f32_e32 v14, v14
	s_sub_i32 s6, 0, s16
	v_readfirstlane_b32 s7, v14
	s_mul_i32 s6, s6, s7
	s_mul_hi_u32 s6, s7, s6
	s_add_i32 s7, s7, s6
	s_mul_hi_u32 s6, s38, s7
	s_mul_i32 s27, s6, s16
	s_sub_i32 s27, s38, s27
	s_add_i32 s7, s6, 1
	s_sub_i32 s29, s27, s16
	s_cmp_ge_u32 s27, s16
	s_cselect_b32 s6, s7, s6
	s_cselect_b32 s27, s29, s27
	s_add_i32 s7, s6, 1
	s_cmp_ge_u32 s27, s16
	s_cselect_b32 s6, s7, s6
	s_mov_b32 s7, s26
.LBB9_50:                               ;   in Loop: Header=BB9_42 Depth=3
	s_mul_i32 s27, s6, s17
	s_mul_hi_u32 s29, s6, s16
	s_add_i32 s27, s29, s27
	s_mul_i32 s7, s7, s16
	s_add_i32 s27, s27, s7
	s_mul_i32 s7, s6, s16
	s_sub_u32 s7, s38, s7
	s_subb_u32 s27, s39, s27
	s_mul_i32 s29, s7, s15
	s_mul_hi_u32 s39, s7, s14
	s_add_i32 s29, s39, s29
	s_mul_i32 s27, s27, s14
	s_add_i32 s41, s29, s27
	s_mul_i32 s40, s7, s14
	s_or_b64 s[42:43], s[40:41], s[16:17]
	s_mov_b32 s27, s43
	s_cmp_lg_u64 s[26:27], 0
	s_cbranch_scc0 .LBB9_84
; %bb.51:                               ;   in Loop: Header=BB9_42 Depth=3
	s_ashr_i32 s42, s17, 31
	s_add_u32 s44, s16, s42
	s_mov_b32 s43, s42
	s_addc_u32 s45, s17, s42
	s_xor_b64 s[44:45], s[44:45], s[42:43]
	v_cvt_f32_u32_e32 v14, s44
	v_cvt_f32_u32_e32 v15, s45
	s_sub_u32 s7, 0, s44
	s_subb_u32 s27, 0, s45
	v_mac_f32_e32 v14, 0x4f800000, v15
	v_rcp_f32_e32 v14, v14
	v_mul_f32_e32 v14, 0x5f7ffffc, v14
	v_mul_f32_e32 v15, 0x2f800000, v14
	v_trunc_f32_e32 v15, v15
	v_mac_f32_e32 v14, 0xcf800000, v15
	v_cvt_u32_f32_e32 v15, v15
	v_cvt_u32_f32_e32 v14, v14
	v_readfirstlane_b32 s29, v15
	v_readfirstlane_b32 s39, v14
	s_mul_i32 s46, s7, s29
	s_mul_hi_u32 s48, s7, s39
	s_mul_i32 s47, s27, s39
	s_add_i32 s46, s48, s46
	s_add_i32 s46, s46, s47
	s_mul_i32 s49, s7, s39
	s_mul_i32 s48, s39, s46
	s_mul_hi_u32 s50, s39, s49
	s_mul_hi_u32 s47, s39, s46
	s_add_u32 s48, s50, s48
	s_addc_u32 s47, 0, s47
	s_mul_hi_u32 s51, s29, s49
	s_mul_i32 s49, s29, s49
	s_add_u32 s48, s48, s49
	s_mul_hi_u32 s50, s29, s46
	s_addc_u32 s47, s47, s51
	s_addc_u32 s48, s50, 0
	s_mul_i32 s46, s29, s46
	s_add_u32 s46, s47, s46
	s_addc_u32 s48, 0, s48
	s_add_u32 s39, s39, s46
	s_cselect_b64 s[46:47], -1, 0
	s_cmp_lg_u64 s[46:47], 0
	s_addc_u32 s29, s29, s48
	s_mul_i32 s46, s7, s29
	s_mul_hi_u32 s47, s7, s39
	s_add_i32 s46, s47, s46
	s_mul_i32 s27, s27, s39
	s_add_i32 s46, s46, s27
	s_mul_i32 s7, s7, s39
	s_mul_hi_u32 s47, s29, s7
	s_mul_i32 s48, s29, s7
	s_mul_i32 s50, s39, s46
	s_mul_hi_u32 s7, s39, s7
	s_mul_hi_u32 s49, s39, s46
	s_add_u32 s7, s7, s50
	s_addc_u32 s49, 0, s49
	s_add_u32 s7, s7, s48
	s_mul_hi_u32 s27, s29, s46
	s_addc_u32 s7, s49, s47
	s_addc_u32 s27, s27, 0
	s_mul_i32 s46, s29, s46
	s_add_u32 s7, s7, s46
	s_addc_u32 s27, 0, s27
	s_add_u32 s7, s39, s7
	s_cselect_b64 s[46:47], -1, 0
	s_cmp_lg_u64 s[46:47], 0
	s_addc_u32 s27, s29, s27
	s_ashr_i32 s46, s41, 31
	s_add_u32 s48, s40, s46
	s_mov_b32 s47, s46
	s_addc_u32 s49, s41, s46
	s_xor_b64 s[48:49], s[48:49], s[46:47]
	s_mul_i32 s39, s48, s27
	s_mul_hi_u32 s41, s48, s7
	s_mul_hi_u32 s29, s48, s27
	s_add_u32 s39, s41, s39
	s_addc_u32 s29, 0, s29
	s_mul_hi_u32 s50, s49, s7
	s_mul_i32 s7, s49, s7
	s_add_u32 s7, s39, s7
	s_mul_hi_u32 s41, s49, s27
	s_addc_u32 s7, s29, s50
	s_addc_u32 s29, s41, 0
	s_mul_i32 s27, s49, s27
	s_add_u32 s7, s7, s27
	s_addc_u32 s27, 0, s29
	s_mul_i32 s29, s44, s27
	s_mul_hi_u32 s39, s44, s7
	s_add_i32 s29, s39, s29
	s_mul_i32 s39, s45, s7
	s_add_i32 s29, s29, s39
	s_sub_i32 s39, s49, s29
	s_mul_i32 s41, s44, s7
	s_sub_u32 s41, s48, s41
	s_cselect_b64 s[50:51], -1, 0
	s_cmp_lg_u64 s[50:51], 0
	s_subb_u32 s39, s39, s45
	s_sub_u32 s48, s41, s44
	s_cselect_b64 s[52:53], -1, 0
	s_cmp_lg_u64 s[52:53], 0
	s_subb_u32 s39, s39, 0
	s_cmp_ge_u32 s39, s45
	s_cselect_b32 s52, -1, 0
	s_cmp_ge_u32 s48, s44
	s_cselect_b32 s48, -1, 0
	s_cmp_eq_u32 s39, s45
	s_cselect_b32 s39, s48, s52
	s_add_u32 s48, s7, 1
	s_addc_u32 s52, s27, 0
	s_add_u32 s53, s7, 2
	s_addc_u32 s67, s27, 0
	s_cmp_lg_u32 s39, 0
	s_cselect_b32 s39, s53, s48
	s_cselect_b32 s48, s67, s52
	s_cmp_lg_u64 s[50:51], 0
	s_subb_u32 s29, s49, s29
	s_cmp_ge_u32 s29, s45
	s_cselect_b32 s49, -1, 0
	s_cmp_ge_u32 s41, s44
	s_cselect_b32 s41, -1, 0
	s_cmp_eq_u32 s29, s45
	s_cselect_b32 s29, s41, s49
	s_cmp_lg_u32 s29, 0
	s_cselect_b32 s45, s48, s27
	s_cselect_b32 s44, s39, s7
	s_xor_b64 s[42:43], s[46:47], s[42:43]
	s_xor_b64 s[44:45], s[44:45], s[42:43]
	s_sub_u32 s42, s44, s42
	s_subb_u32 s43, s45, s43
	v_mov_b32_e32 v14, s42
	v_mov_b32_e32 v15, s43
	s_cbranch_execnz .LBB9_53
.LBB9_52:                               ;   in Loop: Header=BB9_42 Depth=3
	v_mul_f32_e32 v2, 0x4f7ffffe, v2
	v_cvt_u32_f32_e32 v2, v2
	s_sub_i32 s7, 0, s16
	v_mul_lo_u32 v14, s7, v2
	v_mul_hi_u32 v14, v2, v14
	v_add_u32_e32 v2, v2, v14
	v_mul_hi_u32 v2, s40, v2
	v_mul_lo_u32 v14, v2, s16
	v_add_u32_e32 v15, 1, v2
	v_sub_u32_e32 v14, s40, v14
	v_subrev_u32_e32 v16, s16, v14
	v_cmp_le_u32_e32 vcc, s16, v14
	v_cndmask_b32_e32 v14, v14, v16, vcc
	v_cndmask_b32_e32 v2, v2, v15, vcc
	v_add_u32_e32 v15, 1, v2
	v_cmp_le_u32_e32 vcc, s16, v14
	v_cndmask_b32_e32 v14, v2, v15, vcc
.LBB9_53:                               ;   in Loop: Header=BB9_42 Depth=3
	s_and_saveexec_b64 s[40:41], s[2:3]
	s_cbranch_execz .LBB9_41
; %bb.54:                               ;   in Loop: Header=BB9_42 Depth=3
	s_mul_i32 s6, s6, s14
	v_add_u32_e32 v2, s6, v14
	v_sub_u32_e32 v2, v13, v2
	v_add_u32_e32 v34, 1, v2
	s_mov_b64 s[42:43], 0
	v_mov_b32_e32 v13, v12
	v_mov_b32_e32 v35, v3
	s_branch .LBB9_56
.LBB9_55:                               ;   in Loop: Header=BB9_56 Depth=4
	s_or_b64 exec, exec, s[44:45]
	v_add_u32_e32 v35, 1, v35
	v_cmp_ge_i32_e32 vcc, v35, v30
	s_or_b64 s[42:43], vcc, s[42:43]
	v_add_u32_e32 v13, s13, v13
	s_andn2_b64 exec, exec, s[42:43]
	s_cbranch_execz .LBB9_41
.LBB9_56:                               ;   Parent Loop BB9_12 Depth=1
                                        ;     Parent Loop BB9_27 Depth=2
                                        ;       Parent Loop BB9_42 Depth=3
                                        ; =>      This Loop Header: Depth=4
                                        ;           Child Loop BB9_71 Depth 5
	s_and_saveexec_b64 s[44:45], s[4:5]
	s_cbranch_execz .LBB9_55
; %bb.57:                               ;   in Loop: Header=BB9_56 Depth=4
	v_ashrrev_i32_e32 v14, 31, v35
	v_add_co_u32_e32 v2, vcc, 1, v35
	v_addc_co_u32_e32 v15, vcc, 0, v14, vcc
	v_mul_lo_u32 v16, v2, s54
	v_mul_lo_u32 v15, v15, s55
	v_mad_u64_u32 v[17:18], s[6:7], v2, s55, -1
	v_add3_u32 v18, v15, v18, v16
	v_or_b32_e32 v2, s60, v18
	v_cmp_ne_u64_e32 vcc, 0, v[1:2]
                                        ; implicit-def: $vgpr15_vgpr16
	s_and_saveexec_b64 s[6:7], vcc
	s_xor_b64 s[46:47], exec, s[6:7]
	s_cbranch_execz .LBB9_59
; %bb.58:                               ;   in Loop: Header=BB9_56 Depth=4
	s_ashr_i32 s48, s60, 31
	s_add_u32 s6, s65, s48
	s_mov_b32 s49, s48
	s_addc_u32 s7, s60, s48
	s_xor_b64 s[50:51], s[6:7], s[48:49]
	v_cvt_f32_u32_e32 v2, s50
	v_cvt_f32_u32_e32 v15, s51
	s_sub_u32 s27, 0, s50
	s_subb_u32 s29, 0, s51
	v_mac_f32_e32 v2, 0x4f800000, v15
	v_rcp_f32_e32 v2, v2
	v_mul_f32_e32 v2, 0x5f7ffffc, v2
	v_mul_f32_e32 v15, 0x2f800000, v2
	v_trunc_f32_e32 v15, v15
	v_mac_f32_e32 v2, 0xcf800000, v15
	v_cvt_u32_f32_e32 v15, v15
	v_cvt_u32_f32_e32 v2, v2
	v_readfirstlane_b32 s39, v15
	v_readfirstlane_b32 s6, v2
	s_mul_i32 s7, s27, s39
	s_mul_hi_u32 s52, s27, s6
	s_mul_i32 s49, s29, s6
	s_add_i32 s7, s52, s7
	s_add_i32 s7, s7, s49
	s_mul_i32 s53, s27, s6
	s_mul_i32 s52, s6, s7
	s_mul_hi_u32 s67, s6, s53
	s_mul_hi_u32 s49, s6, s7
	s_add_u32 s52, s67, s52
	s_addc_u32 s49, 0, s49
	s_mul_hi_u32 s68, s39, s53
	s_mul_i32 s53, s39, s53
	s_add_u32 s52, s52, s53
	s_mul_hi_u32 s67, s39, s7
	s_addc_u32 s49, s49, s68
	s_addc_u32 s52, s67, 0
	s_mul_i32 s7, s39, s7
	s_add_u32 s7, s49, s7
	s_addc_u32 s49, 0, s52
	s_add_u32 s52, s6, s7
	s_cselect_b64 s[6:7], -1, 0
	s_cmp_lg_u64 s[6:7], 0
	s_addc_u32 s39, s39, s49
	s_mul_i32 s6, s27, s39
	s_mul_hi_u32 s7, s27, s52
	s_add_i32 s6, s7, s6
	s_mul_i32 s29, s29, s52
	s_add_i32 s6, s6, s29
	s_mul_i32 s27, s27, s52
	s_mul_hi_u32 s29, s39, s27
	s_mul_i32 s49, s39, s27
	s_mul_i32 s67, s52, s6
	s_mul_hi_u32 s27, s52, s27
	s_mul_hi_u32 s53, s52, s6
	s_add_u32 s27, s27, s67
	s_addc_u32 s53, 0, s53
	s_add_u32 s27, s27, s49
	s_mul_hi_u32 s7, s39, s6
	s_addc_u32 s27, s53, s29
	s_addc_u32 s7, s7, 0
	s_mul_i32 s6, s39, s6
	s_add_u32 s6, s27, s6
	s_addc_u32 s27, 0, s7
	s_add_u32 s29, s52, s6
	s_cselect_b64 s[6:7], -1, 0
	v_ashrrev_i32_e32 v2, 31, v18
	s_cmp_lg_u64 s[6:7], 0
	v_add_co_u32_e32 v15, vcc, v17, v2
	s_addc_u32 s27, s39, s27
	v_xor_b32_e32 v19, v15, v2
	v_addc_co_u32_e32 v17, vcc, v18, v2, vcc
	v_mad_u64_u32 v[15:16], s[6:7], v19, s27, 0
	v_mul_hi_u32 v18, v19, s29
	v_xor_b32_e32 v20, v17, v2
	v_xor_b32_e32 v2, s48, v2
	v_add_co_u32_e32 v21, vcc, v18, v15
	v_addc_co_u32_e32 v22, vcc, 0, v16, vcc
	v_mad_u64_u32 v[15:16], s[6:7], v20, s29, 0
	v_mad_u64_u32 v[17:18], s[6:7], v20, s27, 0
	v_add_co_u32_e32 v15, vcc, v21, v15
	v_addc_co_u32_e32 v15, vcc, v22, v16, vcc
	v_addc_co_u32_e32 v16, vcc, 0, v18, vcc
	v_add_co_u32_e32 v17, vcc, v15, v17
	v_addc_co_u32_e32 v15, vcc, 0, v16, vcc
	v_mul_lo_u32 v18, s51, v17
	v_mul_lo_u32 v21, s50, v15
	v_mad_u64_u32 v[15:16], s[6:7], s50, v17, 0
	v_add3_u32 v16, v16, v21, v18
	v_sub_u32_e32 v18, v20, v16
	v_mov_b32_e32 v21, s51
	v_sub_co_u32_e32 v15, vcc, v19, v15
	v_subb_co_u32_e64 v18, s[6:7], v18, v21, vcc
	v_subrev_co_u32_e64 v19, s[6:7], s50, v15
	v_subbrev_co_u32_e64 v18, s[6:7], 0, v18, s[6:7]
	v_cmp_le_u32_e64 s[6:7], s51, v18
	v_subb_co_u32_e32 v16, vcc, v20, v16, vcc
	v_cndmask_b32_e64 v21, 0, -1, s[6:7]
	v_cmp_le_u32_e64 s[6:7], s50, v19
	v_cmp_le_u32_e32 vcc, s51, v16
	v_cndmask_b32_e64 v19, 0, -1, s[6:7]
	v_cmp_eq_u32_e64 s[6:7], s51, v18
	v_cndmask_b32_e64 v20, 0, -1, vcc
	v_cmp_le_u32_e32 vcc, s50, v15
	v_cndmask_b32_e64 v18, v21, v19, s[6:7]
	v_cndmask_b32_e64 v15, 0, -1, vcc
	v_cmp_eq_u32_e32 vcc, s51, v16
	v_add_co_u32_e64 v19, s[6:7], 2, v17
	v_add_co_u32_e64 v21, s[6:7], 1, v17
	v_cndmask_b32_e32 v15, v20, v15, vcc
	v_cmp_ne_u32_e32 vcc, 0, v18
	v_cndmask_b32_e32 v16, v21, v19, vcc
	v_cmp_ne_u32_e32 vcc, 0, v15
	v_cndmask_b32_e32 v15, v17, v16, vcc
	v_xor_b32_e32 v15, v15, v2
	v_sub_co_u32_e32 v15, vcc, v15, v2
                                        ; implicit-def: $vgpr17_vgpr18
.LBB9_59:                               ;   in Loop: Header=BB9_56 Depth=4
	s_or_saveexec_b64 s[46:47], s[46:47]
	v_cvt_f32_u32_e32 v2, s65
	v_rcp_iflag_f32_e32 v21, v2
	s_xor_b64 exec, exec, s[46:47]
	s_cbranch_execz .LBB9_61
; %bb.60:                               ;   in Loop: Header=BB9_56 Depth=4
	v_mul_f32_e32 v2, 0x4f7ffffe, v21
	v_cvt_u32_f32_e32 v2, v2
	s_sub_i32 s6, 0, s65
	v_mul_lo_u32 v15, s6, v2
	v_mul_hi_u32 v15, v2, v15
	v_add_u32_e32 v2, v2, v15
	v_mul_hi_u32 v2, v17, v2
	v_mul_lo_u32 v15, v2, s65
	v_sub_u32_e32 v15, v17, v15
	v_cmp_le_u32_e32 vcc, s65, v15
	v_subrev_u32_e32 v16, s65, v15
	v_cndmask_b32_e32 v15, v15, v16, vcc
	v_cmp_le_u32_e64 s[6:7], s65, v15
	v_add_u32_e32 v15, 1, v2
	v_cndmask_b32_e32 v2, v2, v15, vcc
	v_add_u32_e32 v15, 1, v2
	v_cndmask_b32_e64 v15, v2, v15, s[6:7]
.LBB9_61:                               ;   in Loop: Header=BB9_56 Depth=4
	s_or_b64 exec, exec, s[46:47]
	v_or_b32_e32 v2, s60, v14
	v_cmp_ne_u64_e32 vcc, 0, v[1:2]
                                        ; implicit-def: $vgpr16_vgpr17
	s_and_saveexec_b64 s[6:7], vcc
	s_xor_b64 s[46:47], exec, s[6:7]
	s_cbranch_execz .LBB9_63
; %bb.62:                               ;   in Loop: Header=BB9_56 Depth=4
	s_ashr_i32 s48, s60, 31
	s_add_u32 s6, s65, s48
	s_mov_b32 s49, s48
	s_addc_u32 s7, s60, s48
	s_xor_b64 s[50:51], s[6:7], s[48:49]
	v_cvt_f32_u32_e32 v2, s50
	v_cvt_f32_u32_e32 v16, s51
	s_sub_u32 s27, 0, s50
	s_subb_u32 s29, 0, s51
	v_mac_f32_e32 v2, 0x4f800000, v16
	v_rcp_f32_e32 v2, v2
	v_mul_f32_e32 v2, 0x5f7ffffc, v2
	v_mul_f32_e32 v16, 0x2f800000, v2
	v_trunc_f32_e32 v16, v16
	v_mac_f32_e32 v2, 0xcf800000, v16
	v_cvt_u32_f32_e32 v16, v16
	v_cvt_u32_f32_e32 v2, v2
	v_readfirstlane_b32 s39, v16
	v_readfirstlane_b32 s6, v2
	s_mul_i32 s7, s27, s39
	s_mul_hi_u32 s52, s27, s6
	s_mul_i32 s49, s29, s6
	s_add_i32 s7, s52, s7
	s_add_i32 s7, s7, s49
	s_mul_i32 s53, s27, s6
	s_mul_i32 s52, s6, s7
	s_mul_hi_u32 s67, s6, s53
	s_mul_hi_u32 s49, s6, s7
	s_add_u32 s52, s67, s52
	s_addc_u32 s49, 0, s49
	s_mul_hi_u32 s68, s39, s53
	s_mul_i32 s53, s39, s53
	s_add_u32 s52, s52, s53
	s_mul_hi_u32 s67, s39, s7
	s_addc_u32 s49, s49, s68
	s_addc_u32 s52, s67, 0
	s_mul_i32 s7, s39, s7
	s_add_u32 s7, s49, s7
	s_addc_u32 s49, 0, s52
	s_add_u32 s52, s6, s7
	s_cselect_b64 s[6:7], -1, 0
	s_cmp_lg_u64 s[6:7], 0
	s_addc_u32 s39, s39, s49
	s_mul_i32 s6, s27, s39
	s_mul_hi_u32 s7, s27, s52
	s_add_i32 s6, s7, s6
	s_mul_i32 s29, s29, s52
	s_add_i32 s6, s6, s29
	s_mul_i32 s27, s27, s52
	s_mul_hi_u32 s29, s39, s27
	s_mul_i32 s49, s39, s27
	s_mul_i32 s67, s52, s6
	s_mul_hi_u32 s27, s52, s27
	s_mul_hi_u32 s53, s52, s6
	s_add_u32 s27, s27, s67
	s_addc_u32 s53, 0, s53
	s_add_u32 s27, s27, s49
	s_mul_hi_u32 s7, s39, s6
	s_addc_u32 s27, s53, s29
	s_addc_u32 s7, s7, 0
	s_mul_i32 s6, s39, s6
	s_add_u32 s6, s27, s6
	s_addc_u32 s27, 0, s7
	s_add_u32 s29, s52, s6
	s_cselect_b64 s[6:7], -1, 0
	v_ashrrev_i32_e32 v2, 31, v14
	s_cmp_lg_u64 s[6:7], 0
	v_add_co_u32_e32 v16, vcc, v35, v2
	s_addc_u32 s27, s39, s27
	v_xor_b32_e32 v20, v16, v2
	v_mad_u64_u32 v[16:17], s[6:7], v20, s27, 0
	v_mul_hi_u32 v19, v20, s29
	v_addc_co_u32_e32 v18, vcc, v14, v2, vcc
	v_xor_b32_e32 v22, v18, v2
	v_add_co_u32_e32 v23, vcc, v19, v16
	v_addc_co_u32_e32 v24, vcc, 0, v17, vcc
	v_mad_u64_u32 v[16:17], s[6:7], v22, s29, 0
	v_mad_u64_u32 v[18:19], s[6:7], v22, s27, 0
	v_add_co_u32_e32 v16, vcc, v23, v16
	v_addc_co_u32_e32 v16, vcc, v24, v17, vcc
	v_addc_co_u32_e32 v17, vcc, 0, v19, vcc
	v_add_co_u32_e32 v18, vcc, v16, v18
	v_addc_co_u32_e32 v19, vcc, 0, v17, vcc
	v_mul_lo_u32 v23, s51, v18
	v_mul_lo_u32 v24, s50, v19
	v_mad_u64_u32 v[16:17], s[6:7], s50, v18, 0
	v_xor_b32_e32 v2, s48, v2
	v_add3_u32 v17, v17, v24, v23
	v_sub_u32_e32 v23, v22, v17
	v_mov_b32_e32 v24, s51
	v_sub_co_u32_e32 v16, vcc, v20, v16
	v_subb_co_u32_e64 v20, s[6:7], v23, v24, vcc
	v_subrev_co_u32_e64 v23, s[6:7], s50, v16
	v_subbrev_co_u32_e64 v20, s[6:7], 0, v20, s[6:7]
	v_cmp_le_u32_e64 s[6:7], s51, v20
	v_cndmask_b32_e64 v24, 0, -1, s[6:7]
	v_cmp_le_u32_e64 s[6:7], s50, v23
	v_cndmask_b32_e64 v23, 0, -1, s[6:7]
	v_cmp_eq_u32_e64 s[6:7], s51, v20
	v_cndmask_b32_e64 v20, v24, v23, s[6:7]
	v_add_co_u32_e64 v23, s[6:7], 2, v18
	v_subb_co_u32_e32 v17, vcc, v22, v17, vcc
	v_addc_co_u32_e64 v24, s[6:7], 0, v19, s[6:7]
	v_cmp_le_u32_e32 vcc, s51, v17
	v_add_co_u32_e64 v25, s[6:7], 1, v18
	v_cndmask_b32_e64 v22, 0, -1, vcc
	v_cmp_le_u32_e32 vcc, s50, v16
	v_addc_co_u32_e64 v26, s[6:7], 0, v19, s[6:7]
	v_cndmask_b32_e64 v16, 0, -1, vcc
	v_cmp_eq_u32_e32 vcc, s51, v17
	v_cmp_ne_u32_e64 s[6:7], 0, v20
	v_cndmask_b32_e32 v16, v22, v16, vcc
	v_cndmask_b32_e64 v20, v26, v24, s[6:7]
	v_cmp_ne_u32_e32 vcc, 0, v16
	v_cndmask_b32_e64 v17, v25, v23, s[6:7]
	v_cndmask_b32_e32 v16, v19, v20, vcc
	v_cndmask_b32_e32 v17, v18, v17, vcc
	v_xor_b32_e32 v18, v16, v2
	v_xor_b32_e32 v16, v17, v2
	v_sub_co_u32_e32 v16, vcc, v16, v2
	v_subb_co_u32_e32 v17, vcc, v18, v2, vcc
.LBB9_63:                               ;   in Loop: Header=BB9_56 Depth=4
	s_andn2_saveexec_b64 s[6:7], s[46:47]
	s_cbranch_execz .LBB9_65
; %bb.64:                               ;   in Loop: Header=BB9_56 Depth=4
	v_mul_f32_e32 v2, 0x4f7ffffe, v21
	v_cvt_u32_f32_e32 v2, v2
	s_sub_i32 s27, 0, s65
	v_mul_lo_u32 v16, s27, v2
	v_mul_hi_u32 v16, v2, v16
	v_add_u32_e32 v2, v2, v16
	v_mul_hi_u32 v2, v35, v2
	v_mul_lo_u32 v16, v2, s65
	v_add_u32_e32 v17, 1, v2
	v_sub_u32_e32 v16, v35, v16
	v_subrev_u32_e32 v18, s65, v16
	v_cmp_le_u32_e32 vcc, s65, v16
	v_cndmask_b32_e32 v16, v16, v18, vcc
	v_cndmask_b32_e32 v2, v2, v17, vcc
	v_add_u32_e32 v17, 1, v2
	v_cmp_le_u32_e32 vcc, s65, v16
	v_cndmask_b32_e32 v16, v2, v17, vcc
	v_mov_b32_e32 v17, v1
.LBB9_65:                               ;   in Loop: Header=BB9_56 Depth=4
	s_or_b64 exec, exec, s[6:7]
	v_mul_lo_u32 v2, v17, s65
	v_mul_lo_u32 v19, v16, s60
	v_mad_u64_u32 v[17:18], s[6:7], v16, s65, 0
	v_add3_u32 v2, v18, v19, v2
	v_sub_co_u32_e32 v17, vcc, v35, v17
	v_subb_co_u32_e32 v2, vcc, v14, v2, vcc
	v_mul_lo_u32 v2, v2, s55
	v_mul_lo_u32 v14, v17, s54
	v_mad_u64_u32 v[17:18], s[6:7], v17, s55, 0
                                        ; implicit-def: $vgpr19_vgpr20
	v_add3_u32 v18, v18, v14, v2
	v_or_b32_e32 v2, s60, v18
	v_cmp_ne_u64_e32 vcc, 0, v[1:2]
	s_and_saveexec_b64 s[6:7], vcc
	s_xor_b64 s[46:47], exec, s[6:7]
	s_cbranch_execz .LBB9_67
; %bb.66:                               ;   in Loop: Header=BB9_56 Depth=4
	s_ashr_i32 s48, s60, 31
	s_add_u32 s6, s65, s48
	s_mov_b32 s49, s48
	s_addc_u32 s7, s60, s48
	s_xor_b64 s[50:51], s[6:7], s[48:49]
	v_cvt_f32_u32_e32 v2, s50
	v_cvt_f32_u32_e32 v14, s51
	s_sub_u32 s27, 0, s50
	s_subb_u32 s29, 0, s51
	v_mac_f32_e32 v2, 0x4f800000, v14
	v_rcp_f32_e32 v2, v2
	v_mul_f32_e32 v2, 0x5f7ffffc, v2
	v_mul_f32_e32 v14, 0x2f800000, v2
	v_trunc_f32_e32 v14, v14
	v_mac_f32_e32 v2, 0xcf800000, v14
	v_cvt_u32_f32_e32 v14, v14
	v_cvt_u32_f32_e32 v2, v2
	v_readfirstlane_b32 s39, v14
	v_readfirstlane_b32 s6, v2
	s_mul_i32 s7, s27, s39
	s_mul_hi_u32 s52, s27, s6
	s_mul_i32 s49, s29, s6
	s_add_i32 s7, s52, s7
	s_add_i32 s7, s7, s49
	s_mul_i32 s53, s27, s6
	s_mul_i32 s52, s6, s7
	s_mul_hi_u32 s67, s6, s53
	s_mul_hi_u32 s49, s6, s7
	s_add_u32 s52, s67, s52
	s_addc_u32 s49, 0, s49
	s_mul_hi_u32 s68, s39, s53
	s_mul_i32 s53, s39, s53
	s_add_u32 s52, s52, s53
	s_mul_hi_u32 s67, s39, s7
	s_addc_u32 s49, s49, s68
	s_addc_u32 s52, s67, 0
	s_mul_i32 s7, s39, s7
	s_add_u32 s7, s49, s7
	s_addc_u32 s49, 0, s52
	s_add_u32 s52, s6, s7
	s_cselect_b64 s[6:7], -1, 0
	s_cmp_lg_u64 s[6:7], 0
	s_addc_u32 s39, s39, s49
	s_mul_i32 s6, s27, s39
	s_mul_hi_u32 s7, s27, s52
	s_add_i32 s6, s7, s6
	s_mul_i32 s29, s29, s52
	s_add_i32 s6, s6, s29
	s_mul_i32 s27, s27, s52
	s_mul_hi_u32 s29, s39, s27
	s_mul_i32 s49, s39, s27
	s_mul_i32 s67, s52, s6
	s_mul_hi_u32 s27, s52, s27
	s_mul_hi_u32 s53, s52, s6
	s_add_u32 s27, s27, s67
	s_addc_u32 s53, 0, s53
	s_add_u32 s27, s27, s49
	s_mul_hi_u32 s7, s39, s6
	s_addc_u32 s27, s53, s29
	s_addc_u32 s7, s7, 0
	s_mul_i32 s6, s39, s6
	s_add_u32 s6, s27, s6
	s_addc_u32 s27, 0, s7
	s_add_u32 s29, s52, s6
	s_cselect_b64 s[6:7], -1, 0
	v_ashrrev_i32_e32 v2, 31, v18
	s_cmp_lg_u64 s[6:7], 0
	v_add_co_u32_e32 v14, vcc, v17, v2
	s_addc_u32 s27, s39, s27
	v_xor_b32_e32 v14, v14, v2
	v_addc_co_u32_e32 v19, vcc, v18, v2, vcc
	v_mad_u64_u32 v[17:18], s[6:7], v14, s27, 0
	v_mul_hi_u32 v20, v14, s29
	v_xor_b32_e32 v21, v19, v2
	v_xor_b32_e32 v2, s48, v2
	v_add_co_u32_e32 v22, vcc, v20, v17
	v_addc_co_u32_e32 v23, vcc, 0, v18, vcc
	v_mad_u64_u32 v[17:18], s[6:7], v21, s29, 0
	v_mad_u64_u32 v[19:20], s[6:7], v21, s27, 0
	v_add_co_u32_e32 v17, vcc, v22, v17
	v_addc_co_u32_e32 v17, vcc, v23, v18, vcc
	v_addc_co_u32_e32 v18, vcc, 0, v20, vcc
	v_add_co_u32_e32 v19, vcc, v17, v19
	v_addc_co_u32_e32 v17, vcc, 0, v18, vcc
	v_mul_lo_u32 v20, s51, v19
	v_mul_lo_u32 v22, s50, v17
	v_mad_u64_u32 v[17:18], s[6:7], s50, v19, 0
	v_add3_u32 v18, v18, v22, v20
	v_sub_u32_e32 v20, v21, v18
	v_mov_b32_e32 v22, s51
	v_sub_co_u32_e32 v14, vcc, v14, v17
	v_subb_co_u32_e64 v17, s[6:7], v20, v22, vcc
	v_subrev_co_u32_e64 v20, s[6:7], s50, v14
	v_subbrev_co_u32_e64 v17, s[6:7], 0, v17, s[6:7]
	v_cmp_le_u32_e64 s[6:7], s51, v17
	v_subb_co_u32_e32 v18, vcc, v21, v18, vcc
	v_cndmask_b32_e64 v22, 0, -1, s[6:7]
	v_cmp_le_u32_e64 s[6:7], s50, v20
	v_cmp_le_u32_e32 vcc, s51, v18
	v_cndmask_b32_e64 v20, 0, -1, s[6:7]
	v_cmp_eq_u32_e64 s[6:7], s51, v17
	v_cndmask_b32_e64 v21, 0, -1, vcc
	v_cmp_le_u32_e32 vcc, s50, v14
	v_cndmask_b32_e64 v17, v22, v20, s[6:7]
	v_cndmask_b32_e64 v14, 0, -1, vcc
	v_cmp_eq_u32_e32 vcc, s51, v18
	v_add_co_u32_e64 v20, s[6:7], 2, v19
	v_add_co_u32_e64 v22, s[6:7], 1, v19
	v_cndmask_b32_e32 v14, v21, v14, vcc
	v_cmp_ne_u32_e32 vcc, 0, v17
	v_cndmask_b32_e32 v17, v22, v20, vcc
	v_cmp_ne_u32_e32 vcc, 0, v14
	v_cndmask_b32_e32 v14, v19, v17, vcc
	v_xor_b32_e32 v14, v14, v2
	v_sub_co_u32_e32 v19, vcc, v14, v2
                                        ; implicit-def: $vgpr21
                                        ; implicit-def: $vgpr17_vgpr18
.LBB9_67:                               ;   in Loop: Header=BB9_56 Depth=4
	s_andn2_saveexec_b64 s[6:7], s[46:47]
	s_cbranch_execz .LBB9_69
; %bb.68:                               ;   in Loop: Header=BB9_56 Depth=4
	v_mul_f32_e32 v2, 0x4f7ffffe, v21
	v_cvt_u32_f32_e32 v2, v2
	s_sub_i32 s27, 0, s65
	v_mul_lo_u32 v14, s27, v2
	v_mul_hi_u32 v14, v2, v14
	v_add_u32_e32 v2, v2, v14
	v_mul_hi_u32 v2, v17, v2
	v_mul_lo_u32 v14, v2, s65
	v_add_u32_e32 v18, 1, v2
	v_sub_u32_e32 v14, v17, v14
	v_subrev_u32_e32 v17, s65, v14
	v_cmp_le_u32_e32 vcc, s65, v14
	v_cndmask_b32_e32 v14, v14, v17, vcc
	v_cndmask_b32_e32 v2, v2, v18, vcc
	v_add_u32_e32 v17, 1, v2
	v_cmp_le_u32_e32 vcc, s65, v14
	v_cndmask_b32_e32 v19, v2, v17, vcc
.LBB9_69:                               ;   in Loop: Header=BB9_56 Depth=4
	s_or_b64 exec, exec, s[6:7]
	global_load_dword v36, v[8:9], off
	v_mad_u64_u32 v[16:17], s[6:7], v16, s55, v[19:20]
	v_ashrrev_i32_e32 v14, 31, v13
	v_lshlrev_b64 v[17:18], 2, v[13:14]
	v_sub_u32_e32 v14, v15, v16
	v_mul_lo_u32 v16, v34, v14
	v_mov_b32_e32 v2, s37
	v_add_co_u32_e32 v14, vcc, s36, v17
	v_addc_co_u32_e32 v15, vcc, v2, v18, vcc
	v_mov_b32_e32 v18, v11
	v_mov_b32_e32 v20, v7
	v_add_u32_e32 v16, v16, v34
	s_mov_b64 s[46:47], 0
	v_mov_b32_e32 v17, v10
	v_mov_b32_e32 v19, v6
	s_branch .LBB9_71
.LBB9_70:                               ;   in Loop: Header=BB9_71 Depth=5
	s_or_b64 exec, exec, s[6:7]
	global_load_dword v2, v[14:15], off
	v_mad_u64_u32 v[22:23], s[6:7], v22, s57, v[25:26]
	v_sub_u32_e32 v21, v21, v22
	v_mad_u64_u32 v[21:22], s[6:7], v16, v21, v[16:17]
	v_cvt_f32_i32_e32 v21, v21
	s_waitcnt vmcnt(0)
	v_div_scale_f32 v22, s[6:7], v21, v21, v2
	v_div_scale_f32 v23, vcc, v2, v21, v2
	v_rcp_f32_e32 v24, v22
	v_fma_f32 v25, -v22, v24, 1.0
	v_fmac_f32_e32 v24, v25, v24
	v_mul_f32_e32 v25, v23, v24
	v_fma_f32 v26, -v22, v25, v23
	v_fmac_f32_e32 v25, v26, v24
	v_fma_f32 v22, -v22, v25, v23
	v_div_fmas_f32 v22, v22, v24, v25
	v_add_co_u32_e32 v19, vcc, 1, v19
	v_addc_co_u32_e32 v20, vcc, 0, v20, vcc
	v_add_co_u32_e32 v14, vcc, 4, v14
	v_addc_co_u32_e32 v15, vcc, 0, v15, vcc
	v_cmp_ge_i32_e32 vcc, v19, v33
	v_mov_b32_e32 v23, s56
	s_or_b64 s[46:47], vcc, s[46:47]
	v_add_co_u32_e32 v17, vcc, s57, v17
	v_addc_co_u32_e32 v18, vcc, v18, v23, vcc
	v_div_fixup_f32 v2, v22, v21, v2
	v_add_f32_e32 v36, v36, v2
	global_store_dword v[8:9], v36, off
	s_andn2_b64 exec, exec, s[46:47]
	s_cbranch_execz .LBB9_55
.LBB9_71:                               ;   Parent Loop BB9_12 Depth=1
                                        ;     Parent Loop BB9_27 Depth=2
                                        ;       Parent Loop BB9_42 Depth=3
                                        ;         Parent Loop BB9_56 Depth=4
                                        ; =>        This Inner Loop Header: Depth=5
	v_or_b32_e32 v2, s61, v18
	v_cmp_ne_u64_e32 vcc, 0, v[1:2]
                                        ; implicit-def: $vgpr21_vgpr22
	s_and_saveexec_b64 s[6:7], vcc
	s_xor_b64 s[48:49], exec, s[6:7]
	s_cbranch_execz .LBB9_73
; %bb.72:                               ;   in Loop: Header=BB9_71 Depth=5
	s_ashr_i32 s50, s61, 31
	s_add_u32 s6, s66, s50
	s_mov_b32 s51, s50
	s_addc_u32 s7, s61, s50
	s_xor_b64 s[52:53], s[6:7], s[50:51]
	v_cvt_f32_u32_e32 v2, s52
	v_cvt_f32_u32_e32 v21, s53
	s_sub_u32 s27, 0, s52
	s_subb_u32 s29, 0, s53
	v_mac_f32_e32 v2, 0x4f800000, v21
	v_rcp_f32_e32 v2, v2
	v_mul_f32_e32 v2, 0x5f7ffffc, v2
	v_mul_f32_e32 v21, 0x2f800000, v2
	v_trunc_f32_e32 v21, v21
	v_mac_f32_e32 v2, 0xcf800000, v21
	v_cvt_u32_f32_e32 v21, v21
	v_cvt_u32_f32_e32 v2, v2
	v_readfirstlane_b32 s39, v21
	v_readfirstlane_b32 s6, v2
	s_mul_i32 s7, s27, s39
	s_mul_hi_u32 s67, s27, s6
	s_mul_i32 s51, s29, s6
	s_add_i32 s7, s67, s7
	s_add_i32 s7, s7, s51
	s_mul_i32 s68, s27, s6
	s_mul_i32 s67, s6, s7
	s_mul_hi_u32 s69, s6, s68
	s_mul_hi_u32 s51, s6, s7
	s_add_u32 s67, s69, s67
	s_addc_u32 s51, 0, s51
	s_mul_hi_u32 s70, s39, s68
	s_mul_i32 s68, s39, s68
	s_add_u32 s67, s67, s68
	s_mul_hi_u32 s69, s39, s7
	s_addc_u32 s51, s51, s70
	s_addc_u32 s67, s69, 0
	s_mul_i32 s7, s39, s7
	s_add_u32 s7, s51, s7
	s_addc_u32 s51, 0, s67
	s_add_u32 s67, s6, s7
	s_cselect_b64 s[6:7], -1, 0
	s_cmp_lg_u64 s[6:7], 0
	s_addc_u32 s39, s39, s51
	s_mul_i32 s6, s27, s39
	s_mul_hi_u32 s7, s27, s67
	s_add_i32 s6, s7, s6
	s_mul_i32 s29, s29, s67
	s_add_i32 s6, s6, s29
	s_mul_i32 s27, s27, s67
	s_mul_hi_u32 s29, s39, s27
	s_mul_i32 s51, s39, s27
	s_mul_i32 s69, s67, s6
	s_mul_hi_u32 s27, s67, s27
	s_mul_hi_u32 s68, s67, s6
	s_add_u32 s27, s27, s69
	s_addc_u32 s68, 0, s68
	s_add_u32 s27, s27, s51
	s_mul_hi_u32 s7, s39, s6
	s_addc_u32 s27, s68, s29
	s_addc_u32 s7, s7, 0
	s_mul_i32 s6, s39, s6
	s_add_u32 s6, s27, s6
	s_addc_u32 s27, 0, s7
	s_add_u32 s29, s67, s6
	s_cselect_b64 s[6:7], -1, 0
	v_ashrrev_i32_e32 v2, 31, v18
	s_cmp_lg_u64 s[6:7], 0
	v_add_co_u32_e32 v21, vcc, v17, v2
	s_addc_u32 s27, s39, s27
	v_xor_b32_e32 v25, v21, v2
	v_mad_u64_u32 v[21:22], s[6:7], v25, s27, 0
	v_mul_hi_u32 v24, v25, s29
	v_addc_co_u32_e32 v23, vcc, v18, v2, vcc
	v_xor_b32_e32 v26, v23, v2
	v_add_co_u32_e32 v37, vcc, v24, v21
	v_addc_co_u32_e32 v38, vcc, 0, v22, vcc
	v_mad_u64_u32 v[21:22], s[6:7], v26, s29, 0
	v_mad_u64_u32 v[23:24], s[6:7], v26, s27, 0
	v_add_co_u32_e32 v21, vcc, v37, v21
	v_addc_co_u32_e32 v21, vcc, v38, v22, vcc
	v_addc_co_u32_e32 v22, vcc, 0, v24, vcc
	v_add_co_u32_e32 v23, vcc, v21, v23
	v_addc_co_u32_e32 v21, vcc, 0, v22, vcc
	v_mul_lo_u32 v24, s53, v23
	v_mul_lo_u32 v37, s52, v21
	v_mad_u64_u32 v[21:22], s[6:7], s52, v23, 0
	v_xor_b32_e32 v2, s50, v2
	v_add3_u32 v22, v22, v37, v24
	v_sub_u32_e32 v24, v26, v22
	v_mov_b32_e32 v37, s53
	v_sub_co_u32_e32 v21, vcc, v25, v21
	v_subb_co_u32_e64 v24, s[6:7], v24, v37, vcc
	v_subrev_co_u32_e64 v25, s[6:7], s52, v21
	v_subbrev_co_u32_e64 v24, s[6:7], 0, v24, s[6:7]
	v_cmp_le_u32_e64 s[6:7], s53, v24
	v_subb_co_u32_e32 v22, vcc, v26, v22, vcc
	v_cndmask_b32_e64 v37, 0, -1, s[6:7]
	v_cmp_le_u32_e64 s[6:7], s52, v25
	v_cmp_le_u32_e32 vcc, s53, v22
	v_cndmask_b32_e64 v25, 0, -1, s[6:7]
	v_cmp_eq_u32_e64 s[6:7], s53, v24
	v_cndmask_b32_e64 v26, 0, -1, vcc
	v_cmp_le_u32_e32 vcc, s52, v21
	v_cndmask_b32_e64 v24, v37, v25, s[6:7]
	v_cndmask_b32_e64 v21, 0, -1, vcc
	v_cmp_eq_u32_e32 vcc, s53, v22
	v_add_co_u32_e64 v25, s[6:7], 2, v23
	v_add_co_u32_e64 v37, s[6:7], 1, v23
	v_cndmask_b32_e32 v21, v26, v21, vcc
	v_cmp_ne_u32_e32 vcc, 0, v24
	v_cndmask_b32_e32 v22, v37, v25, vcc
	v_cmp_ne_u32_e32 vcc, 0, v21
	v_cndmask_b32_e32 v21, v23, v22, vcc
	v_xor_b32_e32 v21, v21, v2
	v_sub_co_u32_e32 v21, vcc, v21, v2
.LBB9_73:                               ;   in Loop: Header=BB9_71 Depth=5
	s_or_saveexec_b64 s[6:7], s[48:49]
	v_cvt_f32_u32_e32 v37, s66
	s_xor_b64 exec, exec, s[6:7]
	s_cbranch_execz .LBB9_75
; %bb.74:                               ;   in Loop: Header=BB9_71 Depth=5
	v_rcp_iflag_f32_e32 v2, v37
	s_sub_i32 s27, 0, s66
	v_mul_f32_e32 v2, 0x4f7ffffe, v2
	v_cvt_u32_f32_e32 v2, v2
	v_mul_lo_u32 v21, s27, v2
	v_mul_hi_u32 v21, v2, v21
	v_add_u32_e32 v2, v2, v21
	v_mul_hi_u32 v2, v17, v2
	v_mul_lo_u32 v21, v2, s66
	v_add_u32_e32 v22, 1, v2
	v_sub_u32_e32 v21, v17, v21
	v_subrev_u32_e32 v23, s66, v21
	v_cmp_le_u32_e32 vcc, s66, v21
	v_cndmask_b32_e32 v21, v21, v23, vcc
	v_cndmask_b32_e32 v2, v2, v22, vcc
	v_add_u32_e32 v22, 1, v2
	v_cmp_le_u32_e32 vcc, s66, v21
	v_cndmask_b32_e32 v21, v2, v22, vcc
.LBB9_75:                               ;   in Loop: Header=BB9_71 Depth=5
	s_or_b64 exec, exec, s[6:7]
	v_or_b32_e32 v2, s61, v20
	v_cmp_ne_u64_e32 vcc, 0, v[1:2]
                                        ; implicit-def: $vgpr22_vgpr23
	s_and_saveexec_b64 s[6:7], vcc
	s_xor_b64 s[48:49], exec, s[6:7]
	s_cbranch_execz .LBB9_77
; %bb.76:                               ;   in Loop: Header=BB9_71 Depth=5
	s_ashr_i32 s50, s61, 31
	s_add_u32 s6, s66, s50
	s_mov_b32 s51, s50
	s_addc_u32 s7, s61, s50
	s_xor_b64 s[52:53], s[6:7], s[50:51]
	v_cvt_f32_u32_e32 v2, s52
	v_cvt_f32_u32_e32 v22, s53
	s_sub_u32 s27, 0, s52
	s_subb_u32 s29, 0, s53
	v_mac_f32_e32 v2, 0x4f800000, v22
	v_rcp_f32_e32 v2, v2
	v_mul_f32_e32 v2, 0x5f7ffffc, v2
	v_mul_f32_e32 v22, 0x2f800000, v2
	v_trunc_f32_e32 v22, v22
	v_mac_f32_e32 v2, 0xcf800000, v22
	v_cvt_u32_f32_e32 v22, v22
	v_cvt_u32_f32_e32 v2, v2
	v_readfirstlane_b32 s39, v22
	v_readfirstlane_b32 s6, v2
	s_mul_i32 s7, s27, s39
	s_mul_hi_u32 s67, s27, s6
	s_mul_i32 s51, s29, s6
	s_add_i32 s7, s67, s7
	s_add_i32 s7, s7, s51
	s_mul_i32 s68, s27, s6
	s_mul_i32 s67, s6, s7
	s_mul_hi_u32 s69, s6, s68
	s_mul_hi_u32 s51, s6, s7
	s_add_u32 s67, s69, s67
	s_addc_u32 s51, 0, s51
	s_mul_hi_u32 s70, s39, s68
	s_mul_i32 s68, s39, s68
	s_add_u32 s67, s67, s68
	s_mul_hi_u32 s69, s39, s7
	s_addc_u32 s51, s51, s70
	s_addc_u32 s67, s69, 0
	s_mul_i32 s7, s39, s7
	s_add_u32 s7, s51, s7
	s_addc_u32 s51, 0, s67
	s_add_u32 s67, s6, s7
	s_cselect_b64 s[6:7], -1, 0
	s_cmp_lg_u64 s[6:7], 0
	s_addc_u32 s39, s39, s51
	s_mul_i32 s6, s27, s39
	s_mul_hi_u32 s7, s27, s67
	s_add_i32 s6, s7, s6
	s_mul_i32 s29, s29, s67
	s_add_i32 s6, s6, s29
	s_mul_i32 s27, s27, s67
	s_mul_hi_u32 s29, s39, s27
	s_mul_i32 s51, s39, s27
	s_mul_i32 s69, s67, s6
	s_mul_hi_u32 s27, s67, s27
	s_mul_hi_u32 s68, s67, s6
	s_add_u32 s27, s27, s69
	s_addc_u32 s68, 0, s68
	s_add_u32 s27, s27, s51
	s_mul_hi_u32 s7, s39, s6
	s_addc_u32 s27, s68, s29
	s_addc_u32 s7, s7, 0
	s_mul_i32 s6, s39, s6
	s_add_u32 s6, s27, s6
	s_addc_u32 s27, 0, s7
	s_add_u32 s29, s67, s6
	s_cselect_b64 s[6:7], -1, 0
	v_ashrrev_i32_e32 v2, 31, v20
	s_cmp_lg_u64 s[6:7], 0
	v_add_co_u32_e32 v22, vcc, v19, v2
	s_addc_u32 s27, s39, s27
	v_xor_b32_e32 v26, v22, v2
	v_mad_u64_u32 v[22:23], s[6:7], v26, s27, 0
	v_mul_hi_u32 v24, v26, s29
	v_addc_co_u32_e32 v25, vcc, v20, v2, vcc
	v_xor_b32_e32 v38, v25, v2
	v_add_co_u32_e32 v39, vcc, v24, v22
	v_addc_co_u32_e32 v40, vcc, 0, v23, vcc
	v_mad_u64_u32 v[22:23], s[6:7], v38, s29, 0
	v_mad_u64_u32 v[24:25], s[6:7], v38, s27, 0
	v_add_co_u32_e32 v22, vcc, v39, v22
	v_addc_co_u32_e32 v22, vcc, v40, v23, vcc
	v_addc_co_u32_e32 v23, vcc, 0, v25, vcc
	v_add_co_u32_e32 v24, vcc, v22, v24
	v_addc_co_u32_e32 v25, vcc, 0, v23, vcc
	v_mul_lo_u32 v39, s53, v24
	v_mul_lo_u32 v40, s52, v25
	v_mad_u64_u32 v[22:23], s[6:7], s52, v24, 0
	v_xor_b32_e32 v2, s50, v2
	v_add3_u32 v23, v23, v40, v39
	v_sub_u32_e32 v39, v38, v23
	v_mov_b32_e32 v40, s53
	v_sub_co_u32_e32 v22, vcc, v26, v22
	v_subb_co_u32_e64 v26, s[6:7], v39, v40, vcc
	v_subrev_co_u32_e64 v39, s[6:7], s52, v22
	v_subbrev_co_u32_e64 v26, s[6:7], 0, v26, s[6:7]
	v_cmp_le_u32_e64 s[6:7], s53, v26
	v_cndmask_b32_e64 v40, 0, -1, s[6:7]
	v_cmp_le_u32_e64 s[6:7], s52, v39
	v_cndmask_b32_e64 v39, 0, -1, s[6:7]
	v_cmp_eq_u32_e64 s[6:7], s53, v26
	v_cndmask_b32_e64 v26, v40, v39, s[6:7]
	v_add_co_u32_e64 v39, s[6:7], 2, v24
	v_subb_co_u32_e32 v23, vcc, v38, v23, vcc
	v_addc_co_u32_e64 v40, s[6:7], 0, v25, s[6:7]
	v_cmp_le_u32_e32 vcc, s53, v23
	v_add_co_u32_e64 v41, s[6:7], 1, v24
	v_cndmask_b32_e64 v38, 0, -1, vcc
	v_cmp_le_u32_e32 vcc, s52, v22
	v_addc_co_u32_e64 v42, s[6:7], 0, v25, s[6:7]
	v_cndmask_b32_e64 v22, 0, -1, vcc
	v_cmp_eq_u32_e32 vcc, s53, v23
	v_cmp_ne_u32_e64 s[6:7], 0, v26
	v_cndmask_b32_e32 v22, v38, v22, vcc
	v_cndmask_b32_e64 v26, v42, v40, s[6:7]
	v_cmp_ne_u32_e32 vcc, 0, v22
	v_cndmask_b32_e64 v23, v41, v39, s[6:7]
	v_cndmask_b32_e32 v22, v25, v26, vcc
	v_cndmask_b32_e32 v23, v24, v23, vcc
	v_xor_b32_e32 v24, v22, v2
	v_xor_b32_e32 v22, v23, v2
	v_sub_co_u32_e32 v22, vcc, v22, v2
	v_subb_co_u32_e32 v23, vcc, v24, v2, vcc
.LBB9_77:                               ;   in Loop: Header=BB9_71 Depth=5
	s_andn2_saveexec_b64 s[6:7], s[48:49]
	s_cbranch_execz .LBB9_79
; %bb.78:                               ;   in Loop: Header=BB9_71 Depth=5
	v_rcp_iflag_f32_e32 v2, v37
	s_sub_i32 s27, 0, s66
	v_mul_f32_e32 v2, 0x4f7ffffe, v2
	v_cvt_u32_f32_e32 v2, v2
	v_mul_lo_u32 v22, s27, v2
	v_mul_hi_u32 v22, v2, v22
	v_add_u32_e32 v2, v2, v22
	v_mul_hi_u32 v2, v19, v2
	v_mul_lo_u32 v22, v2, s66
	v_add_u32_e32 v23, 1, v2
	v_sub_u32_e32 v22, v19, v22
	v_subrev_u32_e32 v24, s66, v22
	v_cmp_le_u32_e32 vcc, s66, v22
	v_cndmask_b32_e32 v22, v22, v24, vcc
	v_cndmask_b32_e32 v2, v2, v23, vcc
	v_add_u32_e32 v23, 1, v2
	v_cmp_le_u32_e32 vcc, s66, v22
	v_cndmask_b32_e32 v22, v2, v23, vcc
	v_mov_b32_e32 v23, v1
.LBB9_79:                               ;   in Loop: Header=BB9_71 Depth=5
	s_or_b64 exec, exec, s[6:7]
	v_mul_lo_u32 v2, v23, s66
	v_mul_lo_u32 v25, v22, s61
	v_mad_u64_u32 v[23:24], s[6:7], v22, s66, 0
	v_add3_u32 v2, v24, v25, v2
	v_sub_co_u32_e32 v23, vcc, v19, v23
	v_subb_co_u32_e32 v2, vcc, v20, v2, vcc
	v_mul_lo_u32 v2, v2, s57
	v_mul_lo_u32 v25, v23, s56
	v_mad_u64_u32 v[23:24], s[6:7], v23, s57, 0
	v_add3_u32 v24, v24, v25, v2
	v_or_b32_e32 v2, s61, v24
	v_cmp_ne_u64_e32 vcc, 0, v[1:2]
                                        ; implicit-def: $vgpr25_vgpr26
	s_and_saveexec_b64 s[6:7], vcc
	s_xor_b64 s[48:49], exec, s[6:7]
	s_cbranch_execz .LBB9_81
; %bb.80:                               ;   in Loop: Header=BB9_71 Depth=5
	s_ashr_i32 s50, s61, 31
	s_add_u32 s6, s66, s50
	s_mov_b32 s51, s50
	s_addc_u32 s7, s61, s50
	s_xor_b64 s[52:53], s[6:7], s[50:51]
	v_cvt_f32_u32_e32 v2, s52
	v_cvt_f32_u32_e32 v25, s53
	s_sub_u32 s27, 0, s52
	s_subb_u32 s29, 0, s53
	v_mac_f32_e32 v2, 0x4f800000, v25
	v_rcp_f32_e32 v2, v2
	v_mul_f32_e32 v2, 0x5f7ffffc, v2
	v_mul_f32_e32 v25, 0x2f800000, v2
	v_trunc_f32_e32 v25, v25
	v_mac_f32_e32 v2, 0xcf800000, v25
	v_cvt_u32_f32_e32 v25, v25
	v_cvt_u32_f32_e32 v2, v2
	v_readfirstlane_b32 s39, v25
	v_readfirstlane_b32 s6, v2
	s_mul_i32 s7, s27, s39
	s_mul_hi_u32 s67, s27, s6
	s_mul_i32 s51, s29, s6
	s_add_i32 s7, s67, s7
	s_add_i32 s7, s7, s51
	s_mul_i32 s68, s27, s6
	s_mul_i32 s67, s6, s7
	s_mul_hi_u32 s69, s6, s68
	s_mul_hi_u32 s51, s6, s7
	s_add_u32 s67, s69, s67
	s_addc_u32 s51, 0, s51
	s_mul_hi_u32 s70, s39, s68
	s_mul_i32 s68, s39, s68
	s_add_u32 s67, s67, s68
	s_mul_hi_u32 s69, s39, s7
	s_addc_u32 s51, s51, s70
	s_addc_u32 s67, s69, 0
	s_mul_i32 s7, s39, s7
	s_add_u32 s7, s51, s7
	s_addc_u32 s51, 0, s67
	s_add_u32 s67, s6, s7
	s_cselect_b64 s[6:7], -1, 0
	s_cmp_lg_u64 s[6:7], 0
	s_addc_u32 s39, s39, s51
	s_mul_i32 s6, s27, s39
	s_mul_hi_u32 s7, s27, s67
	s_add_i32 s6, s7, s6
	s_mul_i32 s29, s29, s67
	s_add_i32 s6, s6, s29
	s_mul_i32 s27, s27, s67
	s_mul_hi_u32 s29, s39, s27
	s_mul_i32 s51, s39, s27
	s_mul_i32 s69, s67, s6
	s_mul_hi_u32 s27, s67, s27
	s_mul_hi_u32 s68, s67, s6
	s_add_u32 s27, s27, s69
	s_addc_u32 s68, 0, s68
	s_add_u32 s27, s27, s51
	s_mul_hi_u32 s7, s39, s6
	s_addc_u32 s27, s68, s29
	s_addc_u32 s7, s7, 0
	s_mul_i32 s6, s39, s6
	s_add_u32 s6, s27, s6
	s_addc_u32 s27, 0, s7
	s_add_u32 s29, s67, s6
	s_cselect_b64 s[6:7], -1, 0
	v_ashrrev_i32_e32 v2, 31, v24
	s_cmp_lg_u64 s[6:7], 0
	v_add_co_u32_e32 v23, vcc, v23, v2
	s_addc_u32 s27, s39, s27
	v_xor_b32_e32 v37, v23, v2
	v_addc_co_u32_e32 v25, vcc, v24, v2, vcc
	v_mad_u64_u32 v[23:24], s[6:7], v37, s27, 0
	v_mul_hi_u32 v26, v37, s29
	v_xor_b32_e32 v38, v25, v2
	v_xor_b32_e32 v2, s50, v2
	v_add_co_u32_e32 v39, vcc, v26, v23
	v_addc_co_u32_e32 v40, vcc, 0, v24, vcc
	v_mad_u64_u32 v[23:24], s[6:7], v38, s29, 0
	v_mad_u64_u32 v[25:26], s[6:7], v38, s27, 0
	v_add_co_u32_e32 v23, vcc, v39, v23
	v_addc_co_u32_e32 v23, vcc, v40, v24, vcc
	v_addc_co_u32_e32 v24, vcc, 0, v26, vcc
	v_add_co_u32_e32 v25, vcc, v23, v25
	v_addc_co_u32_e32 v23, vcc, 0, v24, vcc
	v_mul_lo_u32 v26, s53, v25
	v_mul_lo_u32 v39, s52, v23
	v_mad_u64_u32 v[23:24], s[6:7], s52, v25, 0
	v_add3_u32 v24, v24, v39, v26
	v_sub_u32_e32 v26, v38, v24
	v_mov_b32_e32 v39, s53
	v_sub_co_u32_e32 v23, vcc, v37, v23
	v_subb_co_u32_e64 v26, s[6:7], v26, v39, vcc
	v_subrev_co_u32_e64 v37, s[6:7], s52, v23
	v_subbrev_co_u32_e64 v26, s[6:7], 0, v26, s[6:7]
	v_cmp_le_u32_e64 s[6:7], s53, v26
	v_subb_co_u32_e32 v24, vcc, v38, v24, vcc
	v_cndmask_b32_e64 v39, 0, -1, s[6:7]
	v_cmp_le_u32_e64 s[6:7], s52, v37
	v_cmp_le_u32_e32 vcc, s53, v24
	v_cndmask_b32_e64 v37, 0, -1, s[6:7]
	v_cmp_eq_u32_e64 s[6:7], s53, v26
	v_cndmask_b32_e64 v38, 0, -1, vcc
	v_cmp_le_u32_e32 vcc, s52, v23
	v_cndmask_b32_e64 v26, v39, v37, s[6:7]
	v_cndmask_b32_e64 v23, 0, -1, vcc
	v_cmp_eq_u32_e32 vcc, s53, v24
	v_add_co_u32_e64 v37, s[6:7], 2, v25
	v_add_co_u32_e64 v39, s[6:7], 1, v25
	v_cndmask_b32_e32 v23, v38, v23, vcc
	v_cmp_ne_u32_e32 vcc, 0, v26
	v_cndmask_b32_e32 v24, v39, v37, vcc
	v_cmp_ne_u32_e32 vcc, 0, v23
	v_cndmask_b32_e32 v23, v25, v24, vcc
	v_xor_b32_e32 v23, v23, v2
	v_sub_co_u32_e32 v25, vcc, v23, v2
                                        ; implicit-def: $vgpr37
                                        ; implicit-def: $vgpr23_vgpr24
.LBB9_81:                               ;   in Loop: Header=BB9_71 Depth=5
	s_andn2_saveexec_b64 s[6:7], s[48:49]
	s_cbranch_execz .LBB9_70
; %bb.82:                               ;   in Loop: Header=BB9_71 Depth=5
	v_rcp_iflag_f32_e32 v2, v37
	s_sub_i32 s27, 0, s66
	v_mul_f32_e32 v2, 0x4f7ffffe, v2
	v_cvt_u32_f32_e32 v2, v2
	v_mul_lo_u32 v24, s27, v2
	v_mul_hi_u32 v24, v2, v24
	v_add_u32_e32 v2, v2, v24
	v_mul_hi_u32 v2, v23, v2
	v_mul_lo_u32 v24, v2, s66
	v_add_u32_e32 v25, 1, v2
	v_sub_u32_e32 v23, v23, v24
	v_subrev_u32_e32 v24, s66, v23
	v_cmp_le_u32_e32 vcc, s66, v23
	v_cndmask_b32_e32 v23, v23, v24, vcc
	v_cndmask_b32_e32 v2, v2, v25, vcc
	v_add_u32_e32 v24, 1, v2
	v_cmp_le_u32_e32 vcc, s66, v23
	v_cndmask_b32_e32 v25, v2, v24, vcc
	s_branch .LBB9_70
.LBB9_83:                               ;   in Loop: Header=BB9_42 Depth=3
                                        ; implicit-def: $sgpr6_sgpr7
	s_branch .LBB9_49
.LBB9_84:                               ;   in Loop: Header=BB9_42 Depth=3
                                        ; implicit-def: $sgpr42_sgpr43
	v_mov_b32_e32 v14, s42
	v_mov_b32_e32 v15, s43
	s_branch .LBB9_52
.LBB9_85:
	s_endpgm
.LBB9_86:
                                        ; implicit-def: $sgpr20_sgpr21
	v_cvt_f32_u32_e32 v2, s14
	s_branch .LBB9_2
.LBB9_87:
                                        ; implicit-def: $sgpr0_sgpr1
	s_branch .LBB9_5
.LBB9_88:
                                        ; implicit-def: $sgpr24_sgpr25
	s_load_dword s21, s[4:5], 0x3c
	s_andn2_b64 vcc, exec, s[22:23]
	s_cbranch_vccz .LBB9_8
	s_branch .LBB9_9
	.section	.rodata,"a",@progbits
	.p2align	6, 0x0
	.amdhsa_kernel _ZN2at6native12_GLOBAL__N_124adaptiveaveragegradinputIffEEvPT_PKS3_iiiiiil
		.amdhsa_group_segment_fixed_size 0
		.amdhsa_private_segment_fixed_size 0
		.amdhsa_kernarg_size 304
		.amdhsa_user_sgpr_count 6
		.amdhsa_user_sgpr_private_segment_buffer 1
		.amdhsa_user_sgpr_dispatch_ptr 0
		.amdhsa_user_sgpr_queue_ptr 0
		.amdhsa_user_sgpr_kernarg_segment_ptr 1
		.amdhsa_user_sgpr_dispatch_id 0
		.amdhsa_user_sgpr_flat_scratch_init 0
		.amdhsa_user_sgpr_private_segment_size 0
		.amdhsa_uses_dynamic_stack 0
		.amdhsa_system_sgpr_private_segment_wavefront_offset 0
		.amdhsa_system_sgpr_workgroup_id_x 1
		.amdhsa_system_sgpr_workgroup_id_y 1
		.amdhsa_system_sgpr_workgroup_id_z 0
		.amdhsa_system_sgpr_workgroup_info 0
		.amdhsa_system_vgpr_workitem_id 1
		.amdhsa_next_free_vgpr 43
		.amdhsa_next_free_sgpr 71
		.amdhsa_reserve_vcc 1
		.amdhsa_reserve_flat_scratch 0
		.amdhsa_float_round_mode_32 0
		.amdhsa_float_round_mode_16_64 0
		.amdhsa_float_denorm_mode_32 3
		.amdhsa_float_denorm_mode_16_64 3
		.amdhsa_dx10_clamp 1
		.amdhsa_ieee_mode 1
		.amdhsa_fp16_overflow 0
		.amdhsa_exception_fp_ieee_invalid_op 0
		.amdhsa_exception_fp_denorm_src 0
		.amdhsa_exception_fp_ieee_div_zero 0
		.amdhsa_exception_fp_ieee_overflow 0
		.amdhsa_exception_fp_ieee_underflow 0
		.amdhsa_exception_fp_ieee_inexact 0
		.amdhsa_exception_int_div_zero 0
	.end_amdhsa_kernel
	.section	.text._ZN2at6native12_GLOBAL__N_124adaptiveaveragegradinputIffEEvPT_PKS3_iiiiiil,"axG",@progbits,_ZN2at6native12_GLOBAL__N_124adaptiveaveragegradinputIffEEvPT_PKS3_iiiiiil,comdat
.Lfunc_end9:
	.size	_ZN2at6native12_GLOBAL__N_124adaptiveaveragegradinputIffEEvPT_PKS3_iiiiiil, .Lfunc_end9-_ZN2at6native12_GLOBAL__N_124adaptiveaveragegradinputIffEEvPT_PKS3_iiiiiil
                                        ; -- End function
	.set _ZN2at6native12_GLOBAL__N_124adaptiveaveragegradinputIffEEvPT_PKS3_iiiiiil.num_vgpr, 43
	.set _ZN2at6native12_GLOBAL__N_124adaptiveaveragegradinputIffEEvPT_PKS3_iiiiiil.num_agpr, 0
	.set _ZN2at6native12_GLOBAL__N_124adaptiveaveragegradinputIffEEvPT_PKS3_iiiiiil.numbered_sgpr, 71
	.set _ZN2at6native12_GLOBAL__N_124adaptiveaveragegradinputIffEEvPT_PKS3_iiiiiil.num_named_barrier, 0
	.set _ZN2at6native12_GLOBAL__N_124adaptiveaveragegradinputIffEEvPT_PKS3_iiiiiil.private_seg_size, 0
	.set _ZN2at6native12_GLOBAL__N_124adaptiveaveragegradinputIffEEvPT_PKS3_iiiiiil.uses_vcc, 1
	.set _ZN2at6native12_GLOBAL__N_124adaptiveaveragegradinputIffEEvPT_PKS3_iiiiiil.uses_flat_scratch, 0
	.set _ZN2at6native12_GLOBAL__N_124adaptiveaveragegradinputIffEEvPT_PKS3_iiiiiil.has_dyn_sized_stack, 0
	.set _ZN2at6native12_GLOBAL__N_124adaptiveaveragegradinputIffEEvPT_PKS3_iiiiiil.has_recursion, 0
	.set _ZN2at6native12_GLOBAL__N_124adaptiveaveragegradinputIffEEvPT_PKS3_iiiiiil.has_indirect_call, 0
	.section	.AMDGPU.csdata,"",@progbits
; Kernel info:
; codeLenInByte = 13408
; TotalNumSgprs: 75
; NumVgprs: 43
; ScratchSize: 0
; MemoryBound: 0
; FloatMode: 240
; IeeeMode: 1
; LDSByteSize: 0 bytes/workgroup (compile time only)
; SGPRBlocks: 9
; VGPRBlocks: 10
; NumSGPRsForWavesPerEU: 75
; NumVGPRsForWavesPerEU: 43
; Occupancy: 5
; WaveLimiterHint : 0
; COMPUTE_PGM_RSRC2:SCRATCH_EN: 0
; COMPUTE_PGM_RSRC2:USER_SGPR: 6
; COMPUTE_PGM_RSRC2:TRAP_HANDLER: 0
; COMPUTE_PGM_RSRC2:TGID_X_EN: 1
; COMPUTE_PGM_RSRC2:TGID_Y_EN: 1
; COMPUTE_PGM_RSRC2:TGID_Z_EN: 0
; COMPUTE_PGM_RSRC2:TIDIG_COMP_CNT: 1
	.section	.text._ZN2at6native12_GLOBAL__N_124adaptiveaveragegradinputIN3c104HalfEfEEvPT_PKS5_iiiiiil,"axG",@progbits,_ZN2at6native12_GLOBAL__N_124adaptiveaveragegradinputIN3c104HalfEfEEvPT_PKS5_iiiiiil,comdat
	.globl	_ZN2at6native12_GLOBAL__N_124adaptiveaveragegradinputIN3c104HalfEfEEvPT_PKS5_iiiiiil ; -- Begin function _ZN2at6native12_GLOBAL__N_124adaptiveaveragegradinputIN3c104HalfEfEEvPT_PKS5_iiiiiil
	.p2align	8
	.type	_ZN2at6native12_GLOBAL__N_124adaptiveaveragegradinputIN3c104HalfEfEEvPT_PKS5_iiiiiil,@function
_ZN2at6native12_GLOBAL__N_124adaptiveaveragegradinputIN3c104HalfEfEEvPT_PKS5_iiiiiil: ; @_ZN2at6native12_GLOBAL__N_124adaptiveaveragegradinputIN3c104HalfEfEEvPT_PKS5_iiiiiil
; %bb.0:
	s_load_dwordx8 s[8:15], s[4:5], 0x10
	s_mov_b32 s0, 0
	s_waitcnt lgkmcnt(0)
	s_add_u32 s18, s14, s6
	s_addc_u32 s19, s15, 0
	s_ashr_i32 s15, s8, 31
	s_mov_b32 s14, s8
	s_or_b64 s[2:3], s[18:19], s[14:15]
	s_mov_b32 s1, s3
	s_cmp_lg_u64 s[0:1], 0
	s_cbranch_scc0 .LBB10_86
; %bb.1:
	s_ashr_i32 s2, s15, 31
	s_add_u32 s0, s14, s2
	s_mov_b32 s3, s2
	s_addc_u32 s1, s15, s2
	s_xor_b64 s[16:17], s[0:1], s[2:3]
	v_cvt_f32_u32_e32 v2, s16
	v_cvt_f32_u32_e32 v3, s17
	s_sub_u32 s6, 0, s16
	s_subb_u32 s8, 0, s17
	v_madmk_f32 v2, v3, 0x4f800000, v2
	v_rcp_f32_e32 v2, v2
	v_mul_f32_e32 v2, 0x5f7ffffc, v2
	v_mul_f32_e32 v3, 0x2f800000, v2
	v_trunc_f32_e32 v3, v3
	v_madmk_f32 v2, v3, 0xcf800000, v2
	v_cvt_u32_f32_e32 v3, v3
	v_cvt_u32_f32_e32 v2, v2
	v_readfirstlane_b32 s22, v3
	v_readfirstlane_b32 s20, v2
	s_mul_i32 s21, s6, s22
	s_mul_hi_u32 s24, s6, s20
	s_mul_i32 s23, s8, s20
	s_add_i32 s21, s24, s21
	s_add_i32 s21, s21, s23
	s_mul_i32 s25, s6, s20
	s_mul_i32 s24, s20, s21
	s_mul_hi_u32 s26, s20, s25
	s_mul_hi_u32 s23, s20, s21
	s_add_u32 s24, s26, s24
	s_addc_u32 s23, 0, s23
	s_mul_hi_u32 s27, s22, s25
	s_mul_i32 s25, s22, s25
	s_add_u32 s24, s24, s25
	s_mul_hi_u32 s26, s22, s21
	s_addc_u32 s23, s23, s27
	s_addc_u32 s24, s26, 0
	s_mul_i32 s21, s22, s21
	s_add_u32 s21, s23, s21
	s_addc_u32 s23, 0, s24
	s_add_u32 s24, s20, s21
	s_cselect_b64 s[20:21], -1, 0
	s_cmp_lg_u64 s[20:21], 0
	s_addc_u32 s22, s22, s23
	s_mul_i32 s20, s6, s22
	s_mul_hi_u32 s21, s6, s24
	s_add_i32 s20, s21, s20
	s_mul_i32 s8, s8, s24
	s_add_i32 s20, s20, s8
	s_mul_i32 s6, s6, s24
	s_mul_hi_u32 s21, s22, s6
	s_mul_i32 s23, s22, s6
	s_mul_i32 s26, s24, s20
	s_mul_hi_u32 s6, s24, s6
	s_mul_hi_u32 s25, s24, s20
	s_add_u32 s6, s6, s26
	s_addc_u32 s25, 0, s25
	s_add_u32 s6, s6, s23
	s_mul_hi_u32 s8, s22, s20
	s_addc_u32 s6, s25, s21
	s_addc_u32 s8, s8, 0
	s_mul_i32 s20, s22, s20
	s_add_u32 s6, s6, s20
	s_addc_u32 s8, 0, s8
	s_add_u32 s6, s24, s6
	s_cselect_b64 s[20:21], -1, 0
	s_cmp_lg_u64 s[20:21], 0
	s_addc_u32 s8, s22, s8
	s_ashr_i32 s20, s19, 31
	s_add_u32 s22, s18, s20
	s_mov_b32 s21, s20
	s_addc_u32 s23, s19, s20
	s_xor_b64 s[22:23], s[22:23], s[20:21]
	s_mul_i32 s25, s22, s8
	s_mul_hi_u32 s26, s22, s6
	s_mul_hi_u32 s24, s22, s8
	s_add_u32 s25, s26, s25
	s_addc_u32 s24, 0, s24
	s_mul_hi_u32 s27, s23, s6
	s_mul_i32 s6, s23, s6
	s_add_u32 s6, s25, s6
	s_mul_hi_u32 s26, s23, s8
	s_addc_u32 s6, s24, s27
	s_addc_u32 s24, s26, 0
	s_mul_i32 s8, s23, s8
	s_add_u32 s6, s6, s8
	s_addc_u32 s8, 0, s24
	s_mul_i32 s24, s16, s8
	s_mul_hi_u32 s25, s16, s6
	s_add_i32 s24, s25, s24
	s_mul_i32 s25, s17, s6
	s_add_i32 s28, s24, s25
	s_sub_i32 s26, s23, s28
	s_mul_i32 s24, s16, s6
	s_sub_u32 s22, s22, s24
	s_cselect_b64 s[24:25], -1, 0
	s_cmp_lg_u64 s[24:25], 0
	s_subb_u32 s29, s26, s17
	s_sub_u32 s30, s22, s16
	s_cselect_b64 s[26:27], -1, 0
	s_cmp_lg_u64 s[26:27], 0
	s_subb_u32 s26, s29, 0
	s_cmp_ge_u32 s26, s17
	s_cselect_b32 s27, -1, 0
	s_cmp_ge_u32 s30, s16
	s_cselect_b32 s29, -1, 0
	s_cmp_eq_u32 s26, s17
	s_cselect_b32 s26, s29, s27
	s_add_u32 s27, s6, 1
	s_addc_u32 s29, s8, 0
	s_add_u32 s30, s6, 2
	s_addc_u32 s31, s8, 0
	s_cmp_lg_u32 s26, 0
	s_cselect_b32 s26, s30, s27
	s_cselect_b32 s27, s31, s29
	s_cmp_lg_u64 s[24:25], 0
	s_subb_u32 s23, s23, s28
	s_cmp_ge_u32 s23, s17
	s_cselect_b32 s24, -1, 0
	s_cmp_ge_u32 s22, s16
	s_cselect_b32 s16, -1, 0
	s_cmp_eq_u32 s23, s17
	s_cselect_b32 s16, s16, s24
	s_cmp_lg_u32 s16, 0
	s_cselect_b32 s17, s27, s8
	s_cselect_b32 s16, s26, s6
	s_xor_b64 s[2:3], s[20:21], s[2:3]
	s_xor_b64 s[16:17], s[16:17], s[2:3]
	s_sub_u32 s20, s16, s2
	s_subb_u32 s21, s17, s3
	v_cvt_f32_u32_e32 v2, s14
	s_cbranch_execnz .LBB10_3
.LBB10_2:
	v_rcp_iflag_f32_e32 v3, v2
	s_sub_i32 s0, 0, s14
	s_mov_b32 s21, 0
	v_mul_f32_e32 v3, 0x4f7ffffe, v3
	v_cvt_u32_f32_e32 v3, v3
	v_readfirstlane_b32 s1, v3
	s_mul_i32 s0, s0, s1
	s_mul_hi_u32 s0, s1, s0
	s_add_i32 s1, s1, s0
	s_mul_hi_u32 s0, s18, s1
	s_mul_i32 s2, s0, s14
	s_sub_i32 s2, s18, s2
	s_add_i32 s1, s0, 1
	s_sub_i32 s3, s2, s14
	s_cmp_ge_u32 s2, s14
	s_cselect_b32 s0, s1, s0
	s_cselect_b32 s2, s3, s2
	s_add_i32 s1, s0, 1
	s_cmp_ge_u32 s2, s14
	s_cselect_b32 s20, s1, s0
.LBB10_3:
	s_mul_i32 s0, s20, s15
	s_mul_hi_u32 s1, s20, s14
	s_add_i32 s0, s1, s0
	s_mul_i32 s1, s21, s14
	s_add_i32 s0, s0, s1
	s_mul_i32 s1, s20, s14
	s_sub_u32 s8, s18, s1
	s_subb_u32 s21, s19, s0
	s_abs_i32 s1, s14
	v_cvt_f32_u32_e32 v3, s1
	s_sub_i32 s6, 0, s1
	s_abs_i32 s3, s8
	s_xor_b32 s0, s8, s14
	v_rcp_iflag_f32_e32 v3, v3
	s_ashr_i32 s17, s11, 31
	s_ashr_i32 s2, s0, 31
	s_mov_b32 s0, 0
	v_mul_f32_e32 v3, 0x4f7ffffe, v3
	v_cvt_u32_f32_e32 v3, v3
	v_readfirstlane_b32 s16, v3
	s_mul_i32 s6, s6, s16
	s_mul_hi_u32 s6, s16, s6
	s_add_i32 s16, s16, s6
	s_mul_hi_u32 s6, s3, s16
	s_mul_i32 s16, s6, s1
	s_sub_i32 s3, s3, s16
	s_add_i32 s16, s6, 1
	s_sub_i32 s22, s3, s1
	s_cmp_ge_u32 s3, s1
	s_cselect_b32 s6, s16, s6
	s_cselect_b32 s3, s22, s3
	s_add_i32 s16, s6, 1
	s_cmp_ge_u32 s3, s1
	s_cselect_b32 s1, s16, s6
	s_xor_b32 s1, s1, s2
	s_sub_i32 s6, s1, s2
	s_mul_i32 s1, s6, s14
	s_sub_i32 s1, s8, s1
	s_mul_hi_i32 s3, s1, s11
	s_mul_i32 s2, s1, s11
	s_or_b64 s[22:23], s[2:3], s[14:15]
	s_mov_b32 s1, s23
	s_cmp_lg_u64 s[0:1], 0
	s_mov_b32 s16, s11
	s_cbranch_scc0 .LBB10_87
; %bb.4:
	s_ashr_i32 s0, s15, 31
	s_add_u32 s22, s14, s0
	s_mov_b32 s1, s0
	s_addc_u32 s23, s15, s0
	s_xor_b64 s[24:25], s[22:23], s[0:1]
	v_cvt_f32_u32_e32 v3, s24
	v_cvt_f32_u32_e32 v4, s25
	s_sub_u32 s28, 0, s24
	s_subb_u32 s29, 0, s25
	v_madmk_f32 v3, v4, 0x4f800000, v3
	v_rcp_f32_e32 v3, v3
	v_mul_f32_e32 v3, 0x5f7ffffc, v3
	v_mul_f32_e32 v4, 0x2f800000, v3
	v_trunc_f32_e32 v4, v4
	v_madmk_f32 v3, v4, 0xcf800000, v3
	v_cvt_u32_f32_e32 v4, v4
	v_cvt_u32_f32_e32 v3, v3
	v_readfirstlane_b32 s30, v4
	v_readfirstlane_b32 s26, v3
	s_mul_i32 s27, s28, s30
	s_mul_hi_u32 s33, s28, s26
	s_mul_i32 s31, s29, s26
	s_add_i32 s27, s33, s27
	s_add_i32 s27, s27, s31
	s_mul_i32 s34, s28, s26
	s_mul_i32 s33, s26, s27
	s_mul_hi_u32 s35, s26, s34
	s_mul_hi_u32 s31, s26, s27
	s_add_u32 s33, s35, s33
	s_addc_u32 s31, 0, s31
	s_mul_hi_u32 s36, s30, s34
	s_mul_i32 s34, s30, s34
	s_add_u32 s33, s33, s34
	s_mul_hi_u32 s35, s30, s27
	s_addc_u32 s31, s31, s36
	s_addc_u32 s33, s35, 0
	s_mul_i32 s27, s30, s27
	s_add_u32 s27, s31, s27
	s_addc_u32 s31, 0, s33
	s_add_u32 s33, s26, s27
	s_cselect_b64 s[26:27], -1, 0
	s_cmp_lg_u64 s[26:27], 0
	s_addc_u32 s30, s30, s31
	s_mul_i32 s26, s28, s30
	s_mul_hi_u32 s27, s28, s33
	s_add_i32 s26, s27, s26
	s_mul_i32 s29, s29, s33
	s_add_i32 s26, s26, s29
	s_mul_i32 s28, s28, s33
	s_mul_hi_u32 s29, s30, s28
	s_mul_i32 s31, s30, s28
	s_mul_i32 s35, s33, s26
	s_mul_hi_u32 s28, s33, s28
	s_mul_hi_u32 s34, s33, s26
	s_add_u32 s28, s28, s35
	s_addc_u32 s34, 0, s34
	s_add_u32 s28, s28, s31
	s_mul_hi_u32 s27, s30, s26
	s_addc_u32 s28, s34, s29
	s_addc_u32 s27, s27, 0
	s_mul_i32 s26, s30, s26
	s_add_u32 s26, s28, s26
	s_addc_u32 s28, 0, s27
	s_add_u32 s31, s33, s26
	s_cselect_b64 s[26:27], -1, 0
	s_cmp_lg_u64 s[26:27], 0
	s_addc_u32 s30, s30, s28
	s_ashr_i32 s26, s3, 31
	s_add_u32 s28, s2, s26
	s_mov_b32 s27, s26
	s_addc_u32 s29, s3, s26
	s_xor_b64 s[28:29], s[28:29], s[26:27]
	s_mul_i32 s33, s28, s30
	s_mul_hi_u32 s34, s28, s31
	s_mul_hi_u32 s3, s28, s30
	s_add_u32 s33, s34, s33
	s_addc_u32 s3, 0, s3
	s_mul_hi_u32 s35, s29, s31
	s_mul_i32 s31, s29, s31
	s_add_u32 s31, s33, s31
	s_mul_hi_u32 s34, s29, s30
	s_addc_u32 s3, s3, s35
	s_addc_u32 s31, s34, 0
	s_mul_i32 s30, s29, s30
	s_add_u32 s3, s3, s30
	s_addc_u32 s33, 0, s31
	s_mul_i32 s30, s24, s33
	s_mul_hi_u32 s31, s24, s3
	s_add_i32 s30, s31, s30
	s_mul_i32 s31, s25, s3
	s_add_i32 s36, s30, s31
	s_sub_i32 s34, s29, s36
	s_mul_i32 s30, s24, s3
	s_sub_u32 s28, s28, s30
	s_cselect_b64 s[30:31], -1, 0
	s_cmp_lg_u64 s[30:31], 0
	s_subb_u32 s37, s34, s25
	s_sub_u32 s38, s28, s24
	s_cselect_b64 s[34:35], -1, 0
	s_cmp_lg_u64 s[34:35], 0
	s_subb_u32 s34, s37, 0
	s_cmp_ge_u32 s34, s25
	s_cselect_b32 s35, -1, 0
	s_cmp_ge_u32 s38, s24
	s_cselect_b32 s37, -1, 0
	s_cmp_eq_u32 s34, s25
	s_cselect_b32 s34, s37, s35
	s_add_u32 s35, s3, 1
	s_addc_u32 s37, s33, 0
	s_add_u32 s38, s3, 2
	s_addc_u32 s39, s33, 0
	s_cmp_lg_u32 s34, 0
	s_cselect_b32 s34, s38, s35
	s_cselect_b32 s35, s39, s37
	s_cmp_lg_u64 s[30:31], 0
	s_subb_u32 s29, s29, s36
	s_cmp_ge_u32 s29, s25
	s_cselect_b32 s30, -1, 0
	s_cmp_ge_u32 s28, s24
	s_cselect_b32 s24, -1, 0
	s_cmp_eq_u32 s29, s25
	s_cselect_b32 s24, s24, s30
	s_cmp_lg_u32 s24, 0
	s_cselect_b32 s25, s35, s33
	s_cselect_b32 s24, s34, s3
	s_xor_b64 s[0:1], s[26:27], s[0:1]
	s_xor_b64 s[24:25], s[24:25], s[0:1]
	s_sub_u32 s0, s24, s0
	s_cbranch_execnz .LBB10_6
.LBB10_5:
	v_rcp_iflag_f32_e32 v3, v2
	s_sub_i32 s0, 0, s14
	v_mul_f32_e32 v3, 0x4f7ffffe, v3
	v_cvt_u32_f32_e32 v3, v3
	v_readfirstlane_b32 s1, v3
	s_mul_i32 s0, s0, s1
	s_mul_hi_u32 s0, s1, s0
	s_add_i32 s1, s1, s0
	s_mul_hi_u32 s0, s2, s1
	s_mul_i32 s3, s0, s14
	s_sub_i32 s2, s2, s3
	s_add_i32 s1, s0, 1
	s_sub_i32 s3, s2, s14
	s_cmp_ge_u32 s2, s14
	s_cselect_b32 s0, s1, s0
	s_cselect_b32 s2, s3, s2
	s_add_i32 s1, s0, 1
	s_cmp_ge_u32 s2, s14
	s_cselect_b32 s0, s1, s0
.LBB10_6:
	s_add_u32 s1, s8, 1
	s_addc_u32 s2, s21, 0
	s_mul_i32 s3, s1, s17
	s_mul_hi_u32 s8, s1, s16
	s_add_i32 s3, s8, s3
	s_mul_i32 s2, s2, s16
	s_add_i32 s3, s3, s2
	s_mul_i32 s1, s1, s16
	s_add_u32 s2, s1, -1
	s_addc_u32 s3, s3, -1
	s_or_b64 s[22:23], s[2:3], s[14:15]
	s_mov_b32 s22, 0
	s_cmp_lg_u64 s[22:23], 0
	s_mov_b64 s[22:23], -1
	s_cbranch_scc0 .LBB10_88
; %bb.7:
	s_ashr_i32 s24, s15, 31
	s_add_u32 s22, s14, s24
	s_mov_b32 s25, s24
	s_addc_u32 s23, s15, s24
	s_xor_b64 s[26:27], s[22:23], s[24:25]
	v_cvt_f32_u32_e32 v3, s26
	v_cvt_f32_u32_e32 v4, s27
	s_sub_u32 s1, 0, s26
	s_subb_u32 s8, 0, s27
	v_madmk_f32 v3, v4, 0x4f800000, v3
	v_rcp_f32_e32 v3, v3
	v_mul_f32_e32 v3, 0x5f7ffffc, v3
	v_mul_f32_e32 v4, 0x2f800000, v3
	v_trunc_f32_e32 v4, v4
	v_madmk_f32 v3, v4, 0xcf800000, v3
	v_cvt_u32_f32_e32 v4, v4
	v_cvt_u32_f32_e32 v3, v3
	v_readfirstlane_b32 s21, v4
	v_readfirstlane_b32 s28, v3
	s_mul_i32 s29, s1, s21
	s_mul_hi_u32 s31, s1, s28
	s_mul_i32 s30, s8, s28
	s_add_i32 s29, s31, s29
	s_add_i32 s29, s29, s30
	s_mul_i32 s33, s1, s28
	s_mul_i32 s31, s28, s29
	s_mul_hi_u32 s34, s28, s33
	s_mul_hi_u32 s30, s28, s29
	s_add_u32 s31, s34, s31
	s_addc_u32 s30, 0, s30
	s_mul_hi_u32 s35, s21, s33
	s_mul_i32 s33, s21, s33
	s_add_u32 s31, s31, s33
	s_mul_hi_u32 s34, s21, s29
	s_addc_u32 s30, s30, s35
	s_addc_u32 s31, s34, 0
	s_mul_i32 s29, s21, s29
	s_add_u32 s29, s30, s29
	s_addc_u32 s30, 0, s31
	s_add_u32 s31, s28, s29
	s_cselect_b64 s[28:29], -1, 0
	s_cmp_lg_u64 s[28:29], 0
	s_addc_u32 s21, s21, s30
	s_mul_i32 s28, s1, s21
	s_mul_hi_u32 s29, s1, s31
	s_add_i32 s28, s29, s28
	s_mul_i32 s8, s8, s31
	s_add_i32 s28, s28, s8
	s_mul_i32 s1, s1, s31
	s_mul_hi_u32 s29, s21, s1
	s_mul_i32 s30, s21, s1
	s_mul_i32 s34, s31, s28
	s_mul_hi_u32 s1, s31, s1
	s_mul_hi_u32 s33, s31, s28
	s_add_u32 s1, s1, s34
	s_addc_u32 s33, 0, s33
	s_add_u32 s1, s1, s30
	s_mul_hi_u32 s8, s21, s28
	s_addc_u32 s1, s33, s29
	s_addc_u32 s8, s8, 0
	s_mul_i32 s28, s21, s28
	s_add_u32 s1, s1, s28
	s_addc_u32 s8, 0, s8
	s_add_u32 s1, s31, s1
	s_cselect_b64 s[28:29], -1, 0
	s_cmp_lg_u64 s[28:29], 0
	s_addc_u32 s8, s21, s8
	s_ashr_i32 s28, s3, 31
	s_add_u32 s30, s2, s28
	s_mov_b32 s29, s28
	s_addc_u32 s31, s3, s28
	s_xor_b64 s[30:31], s[30:31], s[28:29]
	s_mul_i32 s21, s30, s8
	s_mul_hi_u32 s33, s30, s1
	s_mul_hi_u32 s3, s30, s8
	s_add_u32 s21, s33, s21
	s_addc_u32 s3, 0, s3
	s_mul_hi_u32 s34, s31, s1
	s_mul_i32 s1, s31, s1
	s_add_u32 s1, s21, s1
	s_mul_hi_u32 s33, s31, s8
	s_addc_u32 s1, s3, s34
	s_addc_u32 s3, s33, 0
	s_mul_i32 s8, s31, s8
	s_add_u32 s1, s1, s8
	s_addc_u32 s3, 0, s3
	s_mul_i32 s8, s26, s3
	s_mul_hi_u32 s21, s26, s1
	s_add_i32 s8, s21, s8
	s_mul_i32 s21, s27, s1
	s_add_i32 s8, s8, s21
	s_sub_i32 s21, s31, s8
	s_mul_i32 s33, s26, s1
	s_sub_u32 s30, s30, s33
	s_cselect_b64 s[34:35], -1, 0
	s_cmp_lg_u64 s[34:35], 0
	s_subb_u32 s21, s21, s27
	s_sub_u32 s33, s30, s26
	s_cselect_b64 s[36:37], -1, 0
	s_cmp_lg_u64 s[36:37], 0
	s_subb_u32 s21, s21, 0
	s_cmp_ge_u32 s21, s27
	s_cselect_b32 s36, -1, 0
	s_cmp_ge_u32 s33, s26
	s_cselect_b32 s33, -1, 0
	s_cmp_eq_u32 s21, s27
	s_cselect_b32 s21, s33, s36
	s_add_u32 s33, s1, 1
	s_addc_u32 s36, s3, 0
	s_add_u32 s37, s1, 2
	s_addc_u32 s38, s3, 0
	s_cmp_lg_u32 s21, 0
	s_cselect_b32 s21, s37, s33
	s_cselect_b32 s33, s38, s36
	s_cmp_lg_u64 s[34:35], 0
	s_subb_u32 s8, s31, s8
	s_cmp_ge_u32 s8, s27
	s_cselect_b32 s31, -1, 0
	s_cmp_ge_u32 s30, s26
	s_cselect_b32 s26, -1, 0
	s_cmp_eq_u32 s8, s27
	s_cselect_b32 s8, s26, s31
	s_cmp_lg_u32 s8, 0
	s_cselect_b32 s27, s33, s3
	s_cselect_b32 s26, s21, s1
	s_xor_b64 s[24:25], s[28:29], s[24:25]
	s_xor_b64 s[26:27], s[26:27], s[24:25]
	s_sub_u32 s24, s26, s24
	s_load_dword s21, s[4:5], 0x3c
	s_cbranch_execnz .LBB10_9
.LBB10_8:
	v_rcp_iflag_f32_e32 v2, v2
	s_sub_i32 s1, 0, s14
	v_mul_f32_e32 v2, 0x4f7ffffe, v2
	v_cvt_u32_f32_e32 v2, v2
	v_readfirstlane_b32 s3, v2
	s_mul_i32 s1, s1, s3
	s_mul_hi_u32 s1, s3, s1
	s_add_i32 s3, s3, s1
	s_mul_hi_u32 s1, s2, s3
	s_mul_i32 s8, s1, s14
	s_sub_i32 s2, s2, s8
	s_add_i32 s3, s1, 1
	s_sub_i32 s8, s2, s14
	s_cmp_ge_u32 s2, s14
	s_cselect_b32 s1, s3, s1
	s_cselect_b32 s2, s8, s2
	s_add_i32 s3, s1, 1
	s_cmp_ge_u32 s2, s14
	s_cselect_b32 s24, s3, s1
.LBB10_9:
	s_waitcnt lgkmcnt(0)
	s_lshr_b32 s22, s21, 16
	s_mul_i32 s7, s7, s22
	v_add_u32_e32 v27, s7, v1
	v_cmp_gt_i32_e32 vcc, s9, v27
	s_and_saveexec_b64 s[2:3], vcc
	s_cbranch_execz .LBB10_85
; %bb.10:
	s_mul_i32 s6, s6, s16
	s_add_i32 s8, s0, s6
	s_load_dword s64, s[4:5], 0x34
	s_load_dwordx4 s[0:3], s[4:5], 0x0
	s_mul_i32 s6, s10, s9
	s_mul_hi_i32 s4, s10, s9
	s_mul_i32 s5, s6, s19
	s_mul_hi_u32 s7, s6, s18
	s_add_i32 s5, s7, s5
	s_mul_i32 s4, s4, s18
	s_add_i32 s5, s5, s4
	s_mul_i32 s4, s6, s18
	s_add_i32 s33, s24, 1
	s_ashr_i32 s54, s9, 31
	s_ashr_i32 s56, s10, 31
	s_lshl_b64 s[4:5], s[4:5], 1
	s_waitcnt lgkmcnt(0)
	s_add_u32 s58, s0, s4
	s_mul_i32 s0, s11, s20
	s_addc_u32 s59, s1, s5
	s_add_i32 s0, s0, s8
	s_mul_i32 s4, s13, s12
	s_and_b32 s11, s21, 0xffff
	s_ashr_i32 s60, s12, 31
	s_ashr_i32 s61, s13, 31
	s_mul_i32 s0, s4, s0
	s_cmp_gt_i32 s33, s8
	s_cselect_b64 s[18:19], -1, 0
	s_ashr_i32 s1, s0, 31
	s_ashr_i32 s5, s4, 31
	s_lshl_b64 s[0:1], s[0:1], 1
	s_add_u32 s20, s2, s0
	s_addc_u32 s21, s3, s1
	s_ashr_i32 s62, s9, 31
	s_add_i32 s0, s9, s62
	s_xor_b32 s63, s0, s62
	s_mov_b32 s55, s9
	v_cvt_f32_u32_e32 v1, s63
	v_cvt_f32_u32_e32 v2, s55
	s_sub_i32 s2, 0, s63
	s_mov_b32 s57, s10
	v_rcp_iflag_f32_e32 v1, v1
	v_rcp_iflag_f32_e32 v2, v2
	s_mul_i32 s64, s64, s22
	s_mov_b32 s65, s12
	v_mul_f32_e32 v1, 0x4f7ffffe, v1
	v_cvt_u32_f32_e32 v3, v1
	v_mul_f32_e32 v1, 0x4f7ffffe, v2
	v_cvt_u32_f32_e32 v2, v1
	v_cmp_gt_i32_e64 s[0:1], s10, v0
	v_mul_lo_u32 v1, s2, v3
	s_sub_i32 s2, 0, s9
	v_mul_lo_u32 v4, s2, v2
	s_mov_b32 s66, s13
	v_mul_hi_u32 v5, v3, v1
	s_lshl_b64 s[22:23], s[4:5], 1
	v_mul_hi_u32 v4, v2, v4
	s_mov_b64 s[24:25], 0
	v_mov_b32_e32 v1, 0
	s_mov_b32 s26, 0
	v_add_u32_e32 v28, v3, v5
	v_add_u32_e32 v29, v2, v4
	s_ashr_i32 s28, s54, 31
	s_branch .LBB10_12
.LBB10_11:                              ;   in Loop: Header=BB10_12 Depth=1
	s_or_b64 exec, exec, s[30:31]
	v_add_u32_e32 v27, s64, v27
	v_cmp_le_i32_e32 vcc, s9, v27
	s_or_b64 s[24:25], vcc, s[24:25]
	s_andn2_b64 exec, exec, s[24:25]
	s_cbranch_execz .LBB10_85
.LBB10_12:                              ; =>This Loop Header: Depth=1
                                        ;     Child Loop BB10_27 Depth 2
                                        ;       Child Loop BB10_42 Depth 3
                                        ;         Child Loop BB10_56 Depth 4
                                        ;           Child Loop BB10_71 Depth 5
	v_ashrrev_i32_e32 v8, 31, v27
	v_or_b32_e32 v2, s54, v8
	v_cmp_ne_u64_e32 vcc, 0, v[1:2]
                                        ; implicit-def: $vgpr5_vgpr6
	s_and_saveexec_b64 s[2:3], vcc
	s_xor_b64 s[2:3], exec, s[2:3]
	s_cbranch_execz .LBB10_14
; %bb.13:                               ;   in Loop: Header=BB10_12 Depth=1
	v_ashrrev_i32_e32 v2, 31, v27
	v_add_u32_e32 v3, v27, v2
	v_xor_b32_e32 v3, v3, v2
	v_mul_hi_u32 v4, v3, v28
	v_xor_b32_e32 v2, s62, v2
	v_mul_lo_u32 v5, v4, s63
	v_add_u32_e32 v6, 1, v4
	v_sub_u32_e32 v3, v3, v5
	v_subrev_u32_e32 v5, s63, v3
	v_cmp_le_u32_e32 vcc, s63, v3
	v_cndmask_b32_e32 v3, v3, v5, vcc
	v_cndmask_b32_e32 v4, v4, v6, vcc
	v_add_u32_e32 v5, 1, v4
	v_cmp_le_u32_e32 vcc, s63, v3
	v_cndmask_b32_e32 v3, v4, v5, vcc
	v_xor_b32_e32 v3, v3, v2
	v_sub_u32_e32 v5, v3, v2
	v_ashrrev_i32_e32 v6, 31, v5
.LBB10_14:                              ;   in Loop: Header=BB10_12 Depth=1
	s_andn2_saveexec_b64 s[2:3], s[2:3]
	s_cbranch_execz .LBB10_16
; %bb.15:                               ;   in Loop: Header=BB10_12 Depth=1
	v_mul_hi_u32 v2, v27, v29
	v_mov_b32_e32 v6, v1
	v_mul_lo_u32 v3, v2, s55
	v_add_u32_e32 v4, 1, v2
	v_sub_u32_e32 v3, v27, v3
	v_subrev_u32_e32 v5, s55, v3
	v_cmp_le_u32_e32 vcc, s55, v3
	v_cndmask_b32_e32 v3, v3, v5, vcc
	v_cndmask_b32_e32 v2, v2, v4, vcc
	v_add_u32_e32 v4, 1, v2
	v_cmp_le_u32_e32 vcc, s55, v3
	v_cndmask_b32_e32 v5, v2, v4, vcc
.LBB10_16:                              ;   in Loop: Header=BB10_12 Depth=1
	s_or_b64 exec, exec, s[2:3]
	v_mul_lo_u32 v4, v6, s55
	v_mul_lo_u32 v6, v5, s54
	v_mad_u64_u32 v[2:3], s[2:3], v5, s55, 0
	v_add3_u32 v3, v3, v6, v4
	v_sub_co_u32_e32 v2, vcc, v27, v2
	v_subb_co_u32_e32 v3, vcc, v8, v3, vcc
	v_mul_lo_u32 v6, v3, s65
	v_mul_lo_u32 v7, v2, s60
	v_mad_u64_u32 v[3:4], s[2:3], v2, s65, 0
	v_add3_u32 v4, v4, v7, v6
	v_or_b32_e32 v2, s54, v4
	v_cmp_ne_u64_e32 vcc, 0, v[1:2]
                                        ; implicit-def: $vgpr6_vgpr7
	s_and_saveexec_b64 s[2:3], vcc
	s_xor_b64 s[4:5], exec, s[2:3]
	s_cbranch_execz .LBB10_18
; %bb.17:                               ;   in Loop: Header=BB10_12 Depth=1
	s_add_u32 s2, s55, s28
	s_mov_b32 s29, s28
	s_addc_u32 s3, s54, s28
	s_xor_b64 s[6:7], s[2:3], s[28:29]
	v_cvt_f32_u32_e32 v2, s6
	v_cvt_f32_u32_e32 v6, s7
	s_sub_u32 s27, 0, s6
	s_subb_u32 s29, 0, s7
	v_ashrrev_i32_e32 v9, 31, v4
	v_mac_f32_e32 v2, 0x4f800000, v6
	v_rcp_f32_e32 v2, v2
	v_mul_f32_e32 v2, 0x5f7ffffc, v2
	v_mul_f32_e32 v6, 0x2f800000, v2
	v_trunc_f32_e32 v6, v6
	v_mac_f32_e32 v2, 0xcf800000, v6
	v_cvt_u32_f32_e32 v6, v6
	v_cvt_u32_f32_e32 v2, v2
	v_readfirstlane_b32 s30, v6
	v_readfirstlane_b32 s2, v2
	s_mul_i32 s3, s27, s30
	s_mul_hi_u32 s34, s27, s2
	s_mul_i32 s31, s29, s2
	s_add_i32 s3, s34, s3
	s_add_i32 s3, s3, s31
	s_mul_i32 s35, s27, s2
	s_mul_i32 s34, s2, s3
	s_mul_hi_u32 s36, s2, s35
	s_mul_hi_u32 s31, s2, s3
	s_add_u32 s34, s36, s34
	s_addc_u32 s31, 0, s31
	s_mul_hi_u32 s37, s30, s35
	s_mul_i32 s35, s30, s35
	s_add_u32 s34, s34, s35
	s_mul_hi_u32 s36, s30, s3
	s_addc_u32 s31, s31, s37
	s_addc_u32 s34, s36, 0
	s_mul_i32 s3, s30, s3
	s_add_u32 s3, s31, s3
	s_addc_u32 s31, 0, s34
	s_add_u32 s34, s2, s3
	s_cselect_b64 s[2:3], -1, 0
	s_cmp_lg_u64 s[2:3], 0
	s_addc_u32 s30, s30, s31
	s_mul_i32 s2, s27, s30
	s_mul_hi_u32 s3, s27, s34
	s_add_i32 s2, s3, s2
	s_mul_i32 s29, s29, s34
	s_add_i32 s2, s2, s29
	s_mul_i32 s27, s27, s34
	s_mul_hi_u32 s29, s30, s27
	s_mul_i32 s31, s30, s27
	s_mul_i32 s36, s34, s2
	s_mul_hi_u32 s27, s34, s27
	s_mul_hi_u32 s35, s34, s2
	s_add_u32 s27, s27, s36
	s_addc_u32 s35, 0, s35
	s_add_u32 s27, s27, s31
	s_mul_hi_u32 s3, s30, s2
	s_addc_u32 s27, s35, s29
	s_addc_u32 s3, s3, 0
	s_mul_i32 s2, s30, s2
	s_add_u32 s2, s27, s2
	s_addc_u32 s27, 0, s3
	s_add_u32 s29, s34, s2
	s_cselect_b64 s[2:3], -1, 0
	s_cmp_lg_u64 s[2:3], 0
	v_add_co_u32_e32 v2, vcc, v3, v9
	s_addc_u32 s27, s30, s27
	v_xor_b32_e32 v10, v2, v9
	v_mad_u64_u32 v[2:3], s[2:3], v10, s27, 0
	v_mul_hi_u32 v6, v10, s29
	v_addc_co_u32_e32 v4, vcc, v4, v9, vcc
	v_xor_b32_e32 v4, v4, v9
	v_add_co_u32_e32 v11, vcc, v6, v2
	v_addc_co_u32_e32 v12, vcc, 0, v3, vcc
	v_mad_u64_u32 v[2:3], s[2:3], v4, s29, 0
	v_mad_u64_u32 v[6:7], s[2:3], v4, s27, 0
	v_add_co_u32_e32 v2, vcc, v11, v2
	v_addc_co_u32_e32 v2, vcc, v12, v3, vcc
	v_addc_co_u32_e32 v3, vcc, 0, v7, vcc
	v_add_co_u32_e32 v6, vcc, v2, v6
	v_addc_co_u32_e32 v2, vcc, 0, v3, vcc
	v_mul_lo_u32 v7, s7, v6
	v_mul_lo_u32 v11, s6, v2
	v_mad_u64_u32 v[2:3], s[2:3], s6, v6, 0
	v_add3_u32 v3, v3, v11, v7
	v_sub_u32_e32 v7, v4, v3
	v_mov_b32_e32 v11, s7
	v_sub_co_u32_e32 v2, vcc, v10, v2
	v_subb_co_u32_e64 v7, s[2:3], v7, v11, vcc
	v_subrev_co_u32_e64 v10, s[2:3], s6, v2
	v_subbrev_co_u32_e64 v7, s[2:3], 0, v7, s[2:3]
	v_cmp_le_u32_e64 s[2:3], s7, v7
	v_subb_co_u32_e32 v3, vcc, v4, v3, vcc
	v_cndmask_b32_e64 v11, 0, -1, s[2:3]
	v_cmp_le_u32_e64 s[2:3], s6, v10
	v_cmp_le_u32_e32 vcc, s7, v3
	v_cndmask_b32_e64 v10, 0, -1, s[2:3]
	v_cmp_eq_u32_e64 s[2:3], s7, v7
	v_cndmask_b32_e64 v4, 0, -1, vcc
	v_cmp_le_u32_e32 vcc, s6, v2
	v_cndmask_b32_e64 v7, v11, v10, s[2:3]
	v_cndmask_b32_e64 v2, 0, -1, vcc
	v_cmp_eq_u32_e32 vcc, s7, v3
	v_add_co_u32_e64 v10, s[2:3], 2, v6
	v_add_co_u32_e64 v11, s[2:3], 1, v6
	v_cndmask_b32_e32 v2, v4, v2, vcc
	v_cmp_ne_u32_e32 vcc, 0, v7
	v_cndmask_b32_e32 v3, v11, v10, vcc
	v_cmp_ne_u32_e32 vcc, 0, v2
	v_cndmask_b32_e32 v2, v6, v3, vcc
	v_xor_b32_e32 v3, s28, v9
	v_xor_b32_e32 v2, v2, v3
	v_sub_co_u32_e32 v6, vcc, v2, v3
                                        ; implicit-def: $vgpr3_vgpr4
.LBB10_18:                              ;   in Loop: Header=BB10_12 Depth=1
	s_andn2_saveexec_b64 s[2:3], s[4:5]
	s_cbranch_execz .LBB10_20
; %bb.19:                               ;   in Loop: Header=BB10_12 Depth=1
	v_mul_hi_u32 v2, v3, v29
	v_mul_lo_u32 v4, v2, s55
	v_add_u32_e32 v6, 1, v2
	v_sub_u32_e32 v3, v3, v4
	v_subrev_u32_e32 v4, s55, v3
	v_cmp_le_u32_e32 vcc, s55, v3
	v_cndmask_b32_e32 v3, v3, v4, vcc
	v_cndmask_b32_e32 v2, v2, v6, vcc
	v_add_u32_e32 v4, 1, v2
	v_cmp_le_u32_e32 vcc, s55, v3
	v_cndmask_b32_e32 v6, v2, v4, vcc
.LBB10_20:                              ;   in Loop: Header=BB10_12 Depth=1
	s_or_b64 exec, exec, s[2:3]
	v_add_co_u32_e32 v2, vcc, 1, v27
	v_addc_co_u32_e32 v3, vcc, 0, v8, vcc
	v_mul_lo_u32 v7, v2, s60
	v_mul_lo_u32 v8, v3, s65
	v_mad_u64_u32 v[3:4], s[2:3], v2, s65, -1
	v_add3_u32 v4, v8, v4, v7
	v_or_b32_e32 v2, s54, v4
	v_cmp_ne_u64_e32 vcc, 0, v[1:2]
                                        ; implicit-def: $vgpr7_vgpr8
	s_and_saveexec_b64 s[2:3], vcc
	s_xor_b64 s[4:5], exec, s[2:3]
	s_cbranch_execnz .LBB10_23
; %bb.21:                               ;   in Loop: Header=BB10_12 Depth=1
	s_andn2_saveexec_b64 s[2:3], s[4:5]
	s_cbranch_execnz .LBB10_24
.LBB10_22:                              ;   in Loop: Header=BB10_12 Depth=1
	s_or_b64 exec, exec, s[2:3]
	s_and_saveexec_b64 s[30:31], s[0:1]
	s_cbranch_execz .LBB10_11
	s_branch .LBB10_25
.LBB10_23:                              ;   in Loop: Header=BB10_12 Depth=1
	s_add_u32 s2, s55, s28
	s_mov_b32 s29, s28
	s_addc_u32 s3, s54, s28
	s_xor_b64 s[6:7], s[2:3], s[28:29]
	v_cvt_f32_u32_e32 v2, s6
	v_cvt_f32_u32_e32 v7, s7
	s_sub_u32 s27, 0, s6
	s_subb_u32 s29, 0, s7
	v_ashrrev_i32_e32 v9, 31, v4
	v_mac_f32_e32 v2, 0x4f800000, v7
	v_rcp_f32_e32 v2, v2
	v_mul_f32_e32 v2, 0x5f7ffffc, v2
	v_mul_f32_e32 v7, 0x2f800000, v2
	v_trunc_f32_e32 v7, v7
	v_mac_f32_e32 v2, 0xcf800000, v7
	v_cvt_u32_f32_e32 v7, v7
	v_cvt_u32_f32_e32 v2, v2
	v_readfirstlane_b32 s30, v7
	v_readfirstlane_b32 s2, v2
	s_mul_i32 s3, s27, s30
	s_mul_hi_u32 s34, s27, s2
	s_mul_i32 s31, s29, s2
	s_add_i32 s3, s34, s3
	s_add_i32 s3, s3, s31
	s_mul_i32 s35, s27, s2
	s_mul_i32 s34, s2, s3
	s_mul_hi_u32 s36, s2, s35
	s_mul_hi_u32 s31, s2, s3
	s_add_u32 s34, s36, s34
	s_addc_u32 s31, 0, s31
	s_mul_hi_u32 s37, s30, s35
	s_mul_i32 s35, s30, s35
	s_add_u32 s34, s34, s35
	s_mul_hi_u32 s36, s30, s3
	s_addc_u32 s31, s31, s37
	s_addc_u32 s34, s36, 0
	s_mul_i32 s3, s30, s3
	s_add_u32 s3, s31, s3
	s_addc_u32 s31, 0, s34
	s_add_u32 s34, s2, s3
	s_cselect_b64 s[2:3], -1, 0
	s_cmp_lg_u64 s[2:3], 0
	s_addc_u32 s30, s30, s31
	s_mul_i32 s2, s27, s30
	s_mul_hi_u32 s3, s27, s34
	s_add_i32 s2, s3, s2
	s_mul_i32 s29, s29, s34
	s_add_i32 s2, s2, s29
	s_mul_i32 s27, s27, s34
	s_mul_hi_u32 s29, s30, s27
	s_mul_i32 s31, s30, s27
	s_mul_i32 s36, s34, s2
	s_mul_hi_u32 s27, s34, s27
	s_mul_hi_u32 s35, s34, s2
	s_add_u32 s27, s27, s36
	s_addc_u32 s35, 0, s35
	s_add_u32 s27, s27, s31
	s_mul_hi_u32 s3, s30, s2
	s_addc_u32 s27, s35, s29
	s_addc_u32 s3, s3, 0
	s_mul_i32 s2, s30, s2
	s_add_u32 s2, s27, s2
	s_addc_u32 s27, 0, s3
	s_add_u32 s29, s34, s2
	s_cselect_b64 s[2:3], -1, 0
	s_cmp_lg_u64 s[2:3], 0
	v_add_co_u32_e32 v2, vcc, v3, v9
	s_addc_u32 s27, s30, s27
	v_xor_b32_e32 v10, v2, v9
	v_mad_u64_u32 v[2:3], s[2:3], v10, s27, 0
	v_mul_hi_u32 v7, v10, s29
	v_addc_co_u32_e32 v4, vcc, v4, v9, vcc
	v_xor_b32_e32 v4, v4, v9
	v_add_co_u32_e32 v11, vcc, v7, v2
	v_addc_co_u32_e32 v12, vcc, 0, v3, vcc
	v_mad_u64_u32 v[2:3], s[2:3], v4, s29, 0
	v_mad_u64_u32 v[7:8], s[2:3], v4, s27, 0
	v_add_co_u32_e32 v2, vcc, v11, v2
	v_addc_co_u32_e32 v2, vcc, v12, v3, vcc
	v_addc_co_u32_e32 v3, vcc, 0, v8, vcc
	v_add_co_u32_e32 v7, vcc, v2, v7
	v_addc_co_u32_e32 v2, vcc, 0, v3, vcc
	v_mul_lo_u32 v8, s7, v7
	v_mul_lo_u32 v11, s6, v2
	v_mad_u64_u32 v[2:3], s[2:3], s6, v7, 0
	v_add3_u32 v3, v3, v11, v8
	v_sub_u32_e32 v8, v4, v3
	v_mov_b32_e32 v11, s7
	v_sub_co_u32_e32 v2, vcc, v10, v2
	v_subb_co_u32_e64 v8, s[2:3], v8, v11, vcc
	v_subrev_co_u32_e64 v10, s[2:3], s6, v2
	v_subbrev_co_u32_e64 v8, s[2:3], 0, v8, s[2:3]
	v_cmp_le_u32_e64 s[2:3], s7, v8
	v_subb_co_u32_e32 v3, vcc, v4, v3, vcc
	v_cndmask_b32_e64 v11, 0, -1, s[2:3]
	v_cmp_le_u32_e64 s[2:3], s6, v10
	v_cmp_le_u32_e32 vcc, s7, v3
	v_cndmask_b32_e64 v10, 0, -1, s[2:3]
	v_cmp_eq_u32_e64 s[2:3], s7, v8
	v_cndmask_b32_e64 v4, 0, -1, vcc
	v_cmp_le_u32_e32 vcc, s6, v2
	v_cndmask_b32_e64 v8, v11, v10, s[2:3]
	v_cndmask_b32_e64 v2, 0, -1, vcc
	v_cmp_eq_u32_e32 vcc, s7, v3
	v_add_co_u32_e64 v10, s[2:3], 2, v7
	v_add_co_u32_e64 v11, s[2:3], 1, v7
	v_cndmask_b32_e32 v2, v4, v2, vcc
	v_cmp_ne_u32_e32 vcc, 0, v8
	v_cndmask_b32_e32 v3, v11, v10, vcc
	v_cmp_ne_u32_e32 vcc, 0, v2
	v_cndmask_b32_e32 v2, v7, v3, vcc
	v_xor_b32_e32 v3, s28, v9
	v_xor_b32_e32 v2, v2, v3
	v_sub_co_u32_e32 v7, vcc, v2, v3
                                        ; implicit-def: $vgpr3_vgpr4
	s_andn2_saveexec_b64 s[2:3], s[4:5]
	s_cbranch_execz .LBB10_22
.LBB10_24:                              ;   in Loop: Header=BB10_12 Depth=1
	v_mul_hi_u32 v2, v3, v29
	v_mul_lo_u32 v4, v2, s55
	v_add_u32_e32 v7, 1, v2
	v_sub_u32_e32 v3, v3, v4
	v_subrev_u32_e32 v4, s55, v3
	v_cmp_le_u32_e32 vcc, s55, v3
	v_cndmask_b32_e32 v3, v3, v4, vcc
	v_cndmask_b32_e32 v2, v2, v7, vcc
	v_add_u32_e32 v4, 1, v2
	v_cmp_le_u32_e32 vcc, s55, v3
	v_cndmask_b32_e32 v7, v2, v4, vcc
	s_or_b64 exec, exec, s[2:3]
	s_and_saveexec_b64 s[30:31], s[0:1]
	s_cbranch_execz .LBB10_11
.LBB10_25:                              ;   in Loop: Header=BB10_12 Depth=1
	v_mul_lo_u32 v8, v27, s10
	v_add_u32_e32 v30, 1, v7
	v_mad_u64_u32 v[3:4], s[2:3], v5, s65, v[6:7]
	v_ashrrev_i32_e32 v9, 31, v8
	v_lshlrev_b64 v[7:8], 1, v[8:9]
	v_mov_b32_e32 v2, s59
	v_mad_u64_u32 v[4:5], s[2:3], s12, v5, v[6:7]
	v_add_co_u32_e32 v31, vcc, s58, v7
	v_addc_co_u32_e32 v32, vcc, v2, v8, vcc
	v_cmp_gt_i32_e64 s[2:3], v30, v3
	s_mov_b64 s[34:35], 0
	v_mov_b32_e32 v5, v0
	s_branch .LBB10_27
.LBB10_26:                              ;   in Loop: Header=BB10_27 Depth=2
	v_add_u32_e32 v5, s11, v5
	v_cmp_le_i32_e32 vcc, s10, v5
	s_or_b64 s[34:35], vcc, s[34:35]
	s_andn2_b64 exec, exec, s[34:35]
	s_cbranch_execz .LBB10_11
.LBB10_27:                              ;   Parent Loop BB10_12 Depth=1
                                        ; =>  This Loop Header: Depth=2
                                        ;       Child Loop BB10_42 Depth 3
                                        ;         Child Loop BB10_56 Depth 4
                                        ;           Child Loop BB10_71 Depth 5
	s_mov_b32 s27, s56
	s_cmp_lg_u64 s[26:27], 0
	v_mov_b32_e32 v6, v1
	s_cselect_b64 s[4:5], -1, 0
                                        ; implicit-def: $vgpr12_vgpr13
	s_and_saveexec_b64 s[6:7], s[4:5]
	s_xor_b64 s[6:7], exec, s[6:7]
	s_cbranch_execz .LBB10_29
; %bb.28:                               ;   in Loop: Header=BB10_27 Depth=2
	s_ashr_i32 s36, s56, 31
	s_add_u32 s4, s57, s36
	s_mov_b32 s37, s36
	s_addc_u32 s5, s56, s36
	s_xor_b64 s[38:39], s[4:5], s[36:37]
	v_cvt_f32_u32_e32 v2, s38
	v_cvt_f32_u32_e32 v7, s39
	s_sub_u32 s27, 0, s38
	s_subb_u32 s29, 0, s39
	v_mac_f32_e32 v2, 0x4f800000, v7
	v_rcp_f32_e32 v2, v2
	v_mul_f32_e32 v2, 0x5f7ffffc, v2
	v_mul_f32_e32 v7, 0x2f800000, v2
	v_trunc_f32_e32 v7, v7
	v_mac_f32_e32 v2, 0xcf800000, v7
	v_cvt_u32_f32_e32 v7, v7
	v_cvt_u32_f32_e32 v2, v2
	v_readfirstlane_b32 s37, v7
	v_readfirstlane_b32 s4, v2
	s_mul_i32 s5, s27, s37
	s_mul_hi_u32 s41, s27, s4
	s_mul_i32 s40, s29, s4
	s_add_i32 s5, s41, s5
	s_add_i32 s5, s5, s40
	s_mul_i32 s42, s27, s4
	s_mul_i32 s41, s4, s5
	s_mul_hi_u32 s43, s4, s42
	s_mul_hi_u32 s40, s4, s5
	s_add_u32 s41, s43, s41
	s_addc_u32 s40, 0, s40
	s_mul_hi_u32 s44, s37, s42
	s_mul_i32 s42, s37, s42
	s_add_u32 s41, s41, s42
	s_mul_hi_u32 s43, s37, s5
	s_addc_u32 s40, s40, s44
	s_addc_u32 s41, s43, 0
	s_mul_i32 s5, s37, s5
	s_add_u32 s5, s40, s5
	s_addc_u32 s40, 0, s41
	s_add_u32 s41, s4, s5
	s_cselect_b64 s[4:5], -1, 0
	s_cmp_lg_u64 s[4:5], 0
	s_addc_u32 s37, s37, s40
	s_mul_i32 s4, s27, s37
	s_mul_hi_u32 s5, s27, s41
	s_add_i32 s4, s5, s4
	s_mul_i32 s29, s29, s41
	s_add_i32 s4, s4, s29
	s_mul_i32 s27, s27, s41
	s_mul_hi_u32 s29, s37, s27
	s_mul_i32 s40, s37, s27
	s_mul_i32 s43, s41, s4
	s_mul_hi_u32 s27, s41, s27
	s_mul_hi_u32 s42, s41, s4
	s_add_u32 s27, s27, s43
	s_addc_u32 s42, 0, s42
	s_add_u32 s27, s27, s40
	s_mul_hi_u32 s5, s37, s4
	s_addc_u32 s27, s42, s29
	s_addc_u32 s5, s5, 0
	s_mul_i32 s4, s37, s4
	s_add_u32 s4, s27, s4
	s_addc_u32 s27, 0, s5
	s_add_u32 s29, s41, s4
	s_cselect_b64 s[4:5], -1, 0
	s_cmp_lg_u64 s[4:5], 0
	s_addc_u32 s27, s37, s27
	v_add_co_u32_e32 v2, vcc, 0, v5
	v_mad_u64_u32 v[7:8], s[4:5], v2, s27, 0
	v_mul_hi_u32 v9, v2, s29
	v_addc_co_u32_e64 v11, s[4:5], 0, 0, vcc
	v_add_co_u32_e32 v12, vcc, v9, v7
	v_addc_co_u32_e32 v13, vcc, 0, v8, vcc
	v_mad_u64_u32 v[7:8], s[4:5], v11, s29, 0
	v_mad_u64_u32 v[9:10], s[4:5], v11, s27, 0
	v_add_co_u32_e32 v7, vcc, v12, v7
	v_addc_co_u32_e32 v7, vcc, v13, v8, vcc
	v_addc_co_u32_e32 v8, vcc, 0, v10, vcc
	v_add_co_u32_e32 v9, vcc, v7, v9
	v_addc_co_u32_e32 v10, vcc, 0, v8, vcc
	v_mul_lo_u32 v12, s39, v9
	v_mul_lo_u32 v13, s38, v10
	v_mad_u64_u32 v[7:8], s[4:5], s38, v9, 0
	v_add3_u32 v8, v8, v13, v12
	v_sub_u32_e32 v12, v11, v8
	v_mov_b32_e32 v13, s39
	v_sub_co_u32_e32 v2, vcc, v2, v7
	v_subb_co_u32_e64 v7, s[4:5], v12, v13, vcc
	v_subrev_co_u32_e64 v12, s[4:5], s38, v2
	v_subbrev_co_u32_e64 v7, s[4:5], 0, v7, s[4:5]
	v_cmp_le_u32_e64 s[4:5], s39, v7
	v_cndmask_b32_e64 v13, 0, -1, s[4:5]
	v_cmp_le_u32_e64 s[4:5], s38, v12
	v_cndmask_b32_e64 v12, 0, -1, s[4:5]
	v_cmp_eq_u32_e64 s[4:5], s39, v7
	v_cndmask_b32_e64 v7, v13, v12, s[4:5]
	v_add_co_u32_e64 v12, s[4:5], 2, v9
	v_subb_co_u32_e32 v8, vcc, v11, v8, vcc
	v_addc_co_u32_e64 v13, s[4:5], 0, v10, s[4:5]
	v_cmp_le_u32_e32 vcc, s39, v8
	v_add_co_u32_e64 v14, s[4:5], 1, v9
	v_cndmask_b32_e64 v11, 0, -1, vcc
	v_cmp_le_u32_e32 vcc, s38, v2
	v_addc_co_u32_e64 v15, s[4:5], 0, v10, s[4:5]
	v_cndmask_b32_e64 v2, 0, -1, vcc
	v_cmp_eq_u32_e32 vcc, s39, v8
	v_cmp_ne_u32_e64 s[4:5], 0, v7
	v_cndmask_b32_e32 v2, v11, v2, vcc
	v_cndmask_b32_e64 v7, v15, v13, s[4:5]
	v_cmp_ne_u32_e32 vcc, 0, v2
	v_cndmask_b32_e32 v2, v10, v7, vcc
	v_cndmask_b32_e64 v7, v14, v12, s[4:5]
	v_cndmask_b32_e32 v7, v9, v7, vcc
	v_xor_b32_e32 v7, s36, v7
	v_xor_b32_e32 v2, s36, v2
	v_mov_b32_e32 v8, s36
	v_subrev_co_u32_e32 v12, vcc, s36, v7
	v_subb_co_u32_e32 v13, vcc, v2, v8, vcc
.LBB10_29:                              ;   in Loop: Header=BB10_27 Depth=2
	s_or_saveexec_b64 s[4:5], s[6:7]
	v_cvt_f32_u32_e32 v11, s57
	s_xor_b64 exec, exec, s[4:5]
	s_cbranch_execz .LBB10_31
; %bb.30:                               ;   in Loop: Header=BB10_27 Depth=2
	v_rcp_iflag_f32_e32 v2, v11
	s_sub_i32 s6, 0, s57
	v_mov_b32_e32 v13, v1
	v_mul_f32_e32 v2, 0x4f7ffffe, v2
	v_cvt_u32_f32_e32 v2, v2
	v_mul_lo_u32 v7, s6, v2
	v_mul_hi_u32 v7, v2, v7
	v_add_u32_e32 v2, v2, v7
	v_mul_hi_u32 v2, v5, v2
	v_mul_lo_u32 v7, v2, s57
	v_add_u32_e32 v8, 1, v2
	v_sub_u32_e32 v7, v5, v7
	v_subrev_u32_e32 v9, s57, v7
	v_cmp_le_u32_e32 vcc, s57, v7
	v_cndmask_b32_e32 v7, v7, v9, vcc
	v_cndmask_b32_e32 v2, v2, v8, vcc
	v_add_u32_e32 v8, 1, v2
	v_cmp_le_u32_e32 vcc, s57, v7
	v_cndmask_b32_e32 v12, v2, v8, vcc
.LBB10_31:                              ;   in Loop: Header=BB10_27 Depth=2
	s_or_b64 exec, exec, s[4:5]
	v_mul_lo_u32 v2, v13, s57
	v_mul_lo_u32 v9, v12, s56
	v_mad_u64_u32 v[7:8], s[4:5], v12, s57, 0
                                        ; implicit-def: $vgpr13_vgpr14
	v_add3_u32 v2, v8, v9, v2
	v_sub_co_u32_e32 v7, vcc, v5, v7
	v_subb_co_u32_e32 v2, vcc, 0, v2, vcc
	v_mul_lo_u32 v2, v2, s66
	v_mul_lo_u32 v9, v7, s61
	v_mad_u64_u32 v[7:8], s[4:5], v7, s66, 0
	v_add3_u32 v8, v8, v9, v2
	v_or_b32_e32 v2, s56, v8
	v_cmp_ne_u64_e32 vcc, 0, v[1:2]
	s_and_saveexec_b64 s[4:5], vcc
	s_xor_b64 s[6:7], exec, s[4:5]
	s_cbranch_execz .LBB10_33
; %bb.32:                               ;   in Loop: Header=BB10_27 Depth=2
	s_ashr_i32 s36, s56, 31
	s_add_u32 s4, s57, s36
	s_mov_b32 s37, s36
	s_addc_u32 s5, s56, s36
	s_xor_b64 s[38:39], s[4:5], s[36:37]
	v_cvt_f32_u32_e32 v2, s38
	v_cvt_f32_u32_e32 v9, s39
	s_sub_u32 s27, 0, s38
	s_subb_u32 s29, 0, s39
	v_mac_f32_e32 v2, 0x4f800000, v9
	v_rcp_f32_e32 v2, v2
	v_mul_f32_e32 v2, 0x5f7ffffc, v2
	v_mul_f32_e32 v9, 0x2f800000, v2
	v_trunc_f32_e32 v9, v9
	v_mac_f32_e32 v2, 0xcf800000, v9
	v_cvt_u32_f32_e32 v9, v9
	v_cvt_u32_f32_e32 v2, v2
	v_readfirstlane_b32 s37, v9
	v_readfirstlane_b32 s4, v2
	s_mul_i32 s5, s27, s37
	s_mul_hi_u32 s41, s27, s4
	s_mul_i32 s40, s29, s4
	s_add_i32 s5, s41, s5
	s_add_i32 s5, s5, s40
	s_mul_i32 s42, s27, s4
	s_mul_i32 s41, s4, s5
	s_mul_hi_u32 s43, s4, s42
	s_mul_hi_u32 s40, s4, s5
	s_add_u32 s41, s43, s41
	s_addc_u32 s40, 0, s40
	s_mul_hi_u32 s44, s37, s42
	s_mul_i32 s42, s37, s42
	s_add_u32 s41, s41, s42
	s_mul_hi_u32 s43, s37, s5
	s_addc_u32 s40, s40, s44
	s_addc_u32 s41, s43, 0
	s_mul_i32 s5, s37, s5
	s_add_u32 s5, s40, s5
	s_addc_u32 s40, 0, s41
	s_add_u32 s41, s4, s5
	s_cselect_b64 s[4:5], -1, 0
	s_cmp_lg_u64 s[4:5], 0
	s_addc_u32 s37, s37, s40
	s_mul_i32 s4, s27, s37
	s_mul_hi_u32 s5, s27, s41
	s_add_i32 s4, s5, s4
	s_mul_i32 s29, s29, s41
	s_add_i32 s4, s4, s29
	s_mul_i32 s27, s27, s41
	s_mul_hi_u32 s29, s37, s27
	s_mul_i32 s40, s37, s27
	s_mul_i32 s43, s41, s4
	s_mul_hi_u32 s27, s41, s27
	s_mul_hi_u32 s42, s41, s4
	s_add_u32 s27, s27, s43
	s_addc_u32 s42, 0, s42
	s_add_u32 s27, s27, s40
	s_mul_hi_u32 s5, s37, s4
	s_addc_u32 s27, s42, s29
	s_addc_u32 s5, s5, 0
	s_mul_i32 s4, s37, s4
	s_add_u32 s4, s27, s4
	s_addc_u32 s27, 0, s5
	s_add_u32 s29, s41, s4
	s_cselect_b64 s[4:5], -1, 0
	v_ashrrev_i32_e32 v2, 31, v8
	s_cmp_lg_u64 s[4:5], 0
	v_add_co_u32_e32 v7, vcc, v7, v2
	s_addc_u32 s27, s37, s27
	v_xor_b32_e32 v13, v7, v2
	v_addc_co_u32_e32 v9, vcc, v8, v2, vcc
	v_mad_u64_u32 v[7:8], s[4:5], v13, s27, 0
	v_mul_hi_u32 v10, v13, s29
	v_xor_b32_e32 v14, v9, v2
	v_xor_b32_e32 v2, s36, v2
	v_add_co_u32_e32 v15, vcc, v10, v7
	v_addc_co_u32_e32 v16, vcc, 0, v8, vcc
	v_mad_u64_u32 v[7:8], s[4:5], v14, s29, 0
	v_mad_u64_u32 v[9:10], s[4:5], v14, s27, 0
	v_add_co_u32_e32 v7, vcc, v15, v7
	v_addc_co_u32_e32 v7, vcc, v16, v8, vcc
	v_addc_co_u32_e32 v8, vcc, 0, v10, vcc
	v_add_co_u32_e32 v9, vcc, v7, v9
	v_addc_co_u32_e32 v7, vcc, 0, v8, vcc
	v_mul_lo_u32 v10, s39, v9
	v_mul_lo_u32 v15, s38, v7
	v_mad_u64_u32 v[7:8], s[4:5], s38, v9, 0
	v_add3_u32 v8, v8, v15, v10
	v_sub_u32_e32 v10, v14, v8
	v_mov_b32_e32 v15, s39
	v_sub_co_u32_e32 v7, vcc, v13, v7
	v_subb_co_u32_e64 v10, s[4:5], v10, v15, vcc
	v_subrev_co_u32_e64 v13, s[4:5], s38, v7
	v_subbrev_co_u32_e64 v10, s[4:5], 0, v10, s[4:5]
	v_cmp_le_u32_e64 s[4:5], s39, v10
	v_subb_co_u32_e32 v8, vcc, v14, v8, vcc
	v_cndmask_b32_e64 v15, 0, -1, s[4:5]
	v_cmp_le_u32_e64 s[4:5], s38, v13
	v_cmp_le_u32_e32 vcc, s39, v8
	v_cndmask_b32_e64 v13, 0, -1, s[4:5]
	v_cmp_eq_u32_e64 s[4:5], s39, v10
	v_cndmask_b32_e64 v14, 0, -1, vcc
	v_cmp_le_u32_e32 vcc, s38, v7
	v_cndmask_b32_e64 v10, v15, v13, s[4:5]
	v_cndmask_b32_e64 v7, 0, -1, vcc
	v_cmp_eq_u32_e32 vcc, s39, v8
	v_add_co_u32_e64 v13, s[4:5], 2, v9
	v_add_co_u32_e64 v15, s[4:5], 1, v9
	v_cndmask_b32_e32 v7, v14, v7, vcc
	v_cmp_ne_u32_e32 vcc, 0, v10
	v_cndmask_b32_e32 v8, v15, v13, vcc
	v_cmp_ne_u32_e32 vcc, 0, v7
	v_cndmask_b32_e32 v7, v9, v8, vcc
	v_xor_b32_e32 v7, v7, v2
	v_sub_co_u32_e32 v13, vcc, v7, v2
                                        ; implicit-def: $vgpr7_vgpr8
.LBB10_33:                              ;   in Loop: Header=BB10_27 Depth=2
	s_andn2_saveexec_b64 s[4:5], s[6:7]
	s_cbranch_execz .LBB10_35
; %bb.34:                               ;   in Loop: Header=BB10_27 Depth=2
	v_rcp_iflag_f32_e32 v2, v11
	s_sub_i32 s6, 0, s57
	v_mul_f32_e32 v2, 0x4f7ffffe, v2
	v_cvt_u32_f32_e32 v2, v2
	v_mul_lo_u32 v8, s6, v2
	v_mul_hi_u32 v8, v2, v8
	v_add_u32_e32 v2, v2, v8
	v_mul_hi_u32 v2, v7, v2
	v_mul_lo_u32 v8, v2, s57
	v_add_u32_e32 v9, 1, v2
	v_sub_u32_e32 v7, v7, v8
	v_subrev_u32_e32 v8, s57, v7
	v_cmp_le_u32_e32 vcc, s57, v7
	v_cndmask_b32_e32 v7, v7, v8, vcc
	v_cndmask_b32_e32 v2, v2, v9, vcc
	v_add_u32_e32 v8, 1, v2
	v_cmp_le_u32_e32 vcc, s57, v7
	v_cndmask_b32_e32 v13, v2, v8, vcc
.LBB10_35:                              ;   in Loop: Header=BB10_27 Depth=2
	s_or_b64 exec, exec, s[4:5]
	v_add_u32_e32 v9, 1, v5
	v_mad_u64_u32 v[7:8], s[4:5], v9, s66, -1
	v_mov_b32_e32 v2, v8
	v_mad_u64_u32 v[8:9], s[4:5], v9, s61, v[2:3]
                                        ; implicit-def: $vgpr9_vgpr10
	v_or_b32_e32 v2, s56, v8
	v_cmp_ne_u64_e32 vcc, 0, v[1:2]
	v_mov_b32_e32 v2, v8
	s_and_saveexec_b64 s[4:5], vcc
	s_xor_b64 s[6:7], exec, s[4:5]
	s_cbranch_execnz .LBB10_38
; %bb.36:                               ;   in Loop: Header=BB10_27 Depth=2
	s_andn2_saveexec_b64 s[4:5], s[6:7]
	s_cbranch_execnz .LBB10_39
.LBB10_37:                              ;   in Loop: Header=BB10_27 Depth=2
	s_or_b64 exec, exec, s[4:5]
	s_andn2_b64 vcc, exec, s[18:19]
	s_cbranch_vccnz .LBB10_26
	s_branch .LBB10_40
.LBB10_38:                              ;   in Loop: Header=BB10_27 Depth=2
	s_ashr_i32 s36, s56, 31
	s_add_u32 s4, s57, s36
	s_mov_b32 s37, s36
	s_addc_u32 s5, s56, s36
	s_xor_b64 s[38:39], s[4:5], s[36:37]
	v_cvt_f32_u32_e32 v8, s38
	v_cvt_f32_u32_e32 v9, s39
	s_sub_u32 s27, 0, s38
	s_subb_u32 s29, 0, s39
	v_ashrrev_i32_e32 v11, 31, v2
	v_mac_f32_e32 v8, 0x4f800000, v9
	v_rcp_f32_e32 v8, v8
	v_add_co_u32_e32 v7, vcc, v7, v11
	v_xor_b32_e32 v14, v7, v11
	v_mul_f32_e32 v8, 0x5f7ffffc, v8
	v_mul_f32_e32 v9, 0x2f800000, v8
	v_trunc_f32_e32 v9, v9
	v_mac_f32_e32 v8, 0xcf800000, v9
	v_cvt_u32_f32_e32 v9, v9
	v_cvt_u32_f32_e32 v8, v8
	v_addc_co_u32_e32 v2, vcc, v2, v11, vcc
	v_readfirstlane_b32 s37, v9
	v_readfirstlane_b32 s4, v8
	s_mul_i32 s5, s27, s37
	s_mul_hi_u32 s41, s27, s4
	s_mul_i32 s40, s29, s4
	s_add_i32 s5, s41, s5
	s_add_i32 s5, s5, s40
	s_mul_i32 s42, s27, s4
	s_mul_i32 s41, s4, s5
	s_mul_hi_u32 s43, s4, s42
	s_mul_hi_u32 s40, s4, s5
	s_add_u32 s41, s43, s41
	s_addc_u32 s40, 0, s40
	s_mul_hi_u32 s44, s37, s42
	s_mul_i32 s42, s37, s42
	s_add_u32 s41, s41, s42
	s_mul_hi_u32 s43, s37, s5
	s_addc_u32 s40, s40, s44
	s_addc_u32 s41, s43, 0
	s_mul_i32 s5, s37, s5
	s_add_u32 s5, s40, s5
	s_addc_u32 s40, 0, s41
	s_add_u32 s41, s4, s5
	s_cselect_b64 s[4:5], -1, 0
	s_cmp_lg_u64 s[4:5], 0
	s_addc_u32 s37, s37, s40
	s_mul_i32 s4, s27, s37
	s_mul_hi_u32 s5, s27, s41
	s_add_i32 s4, s5, s4
	s_mul_i32 s29, s29, s41
	s_add_i32 s4, s4, s29
	s_mul_i32 s27, s27, s41
	s_mul_hi_u32 s29, s37, s27
	s_mul_i32 s40, s37, s27
	s_mul_i32 s43, s41, s4
	s_mul_hi_u32 s27, s41, s27
	s_mul_hi_u32 s42, s41, s4
	s_add_u32 s27, s27, s43
	s_addc_u32 s42, 0, s42
	s_add_u32 s27, s27, s40
	s_mul_hi_u32 s5, s37, s4
	s_addc_u32 s27, s42, s29
	s_addc_u32 s5, s5, 0
	s_mul_i32 s4, s37, s4
	s_add_u32 s4, s27, s4
	s_addc_u32 s27, 0, s5
	s_add_u32 s29, s41, s4
	s_cselect_b64 s[4:5], -1, 0
	s_cmp_lg_u64 s[4:5], 0
	s_addc_u32 s27, s37, s27
	v_mad_u64_u32 v[7:8], s[4:5], v14, s27, 0
	v_mul_hi_u32 v9, v14, s29
	v_xor_b32_e32 v2, v2, v11
	v_add_co_u32_e32 v15, vcc, v9, v7
	v_addc_co_u32_e32 v16, vcc, 0, v8, vcc
	v_mad_u64_u32 v[7:8], s[4:5], v2, s29, 0
	v_mad_u64_u32 v[9:10], s[4:5], v2, s27, 0
	v_add_co_u32_e32 v7, vcc, v15, v7
	v_addc_co_u32_e32 v7, vcc, v16, v8, vcc
	v_addc_co_u32_e32 v8, vcc, 0, v10, vcc
	v_add_co_u32_e32 v9, vcc, v7, v9
	v_addc_co_u32_e32 v7, vcc, 0, v8, vcc
	v_mul_lo_u32 v10, s39, v9
	v_mul_lo_u32 v15, s38, v7
	v_mad_u64_u32 v[7:8], s[4:5], s38, v9, 0
	v_add3_u32 v8, v8, v15, v10
	v_sub_u32_e32 v10, v2, v8
	v_mov_b32_e32 v15, s39
	v_sub_co_u32_e32 v7, vcc, v14, v7
	v_subb_co_u32_e64 v10, s[4:5], v10, v15, vcc
	v_subrev_co_u32_e64 v14, s[4:5], s38, v7
	v_subbrev_co_u32_e64 v10, s[4:5], 0, v10, s[4:5]
	v_cmp_le_u32_e64 s[4:5], s39, v10
	v_subb_co_u32_e32 v2, vcc, v2, v8, vcc
	v_cndmask_b32_e64 v15, 0, -1, s[4:5]
	v_cmp_le_u32_e64 s[4:5], s38, v14
	v_cmp_le_u32_e32 vcc, s39, v2
	v_cndmask_b32_e64 v14, 0, -1, s[4:5]
	v_cmp_eq_u32_e64 s[4:5], s39, v10
	v_cndmask_b32_e64 v8, 0, -1, vcc
	v_cmp_le_u32_e32 vcc, s38, v7
	v_cndmask_b32_e64 v10, v15, v14, s[4:5]
	v_cndmask_b32_e64 v7, 0, -1, vcc
	v_cmp_eq_u32_e32 vcc, s39, v2
	v_add_co_u32_e64 v14, s[4:5], 2, v9
	v_add_co_u32_e64 v15, s[4:5], 1, v9
	v_cndmask_b32_e32 v2, v8, v7, vcc
	v_cmp_ne_u32_e32 vcc, 0, v10
	v_cndmask_b32_e32 v7, v15, v14, vcc
	v_cmp_ne_u32_e32 vcc, 0, v2
	v_cndmask_b32_e32 v2, v9, v7, vcc
	v_xor_b32_e32 v7, s36, v11
	v_xor_b32_e32 v2, v2, v7
	v_sub_co_u32_e32 v9, vcc, v2, v7
                                        ; implicit-def: $vgpr11
                                        ; implicit-def: $vgpr7_vgpr8
	s_andn2_saveexec_b64 s[4:5], s[6:7]
	s_cbranch_execz .LBB10_37
.LBB10_39:                              ;   in Loop: Header=BB10_27 Depth=2
	v_rcp_iflag_f32_e32 v2, v11
	s_sub_i32 s6, 0, s57
	v_mul_f32_e32 v2, 0x4f7ffffe, v2
	v_cvt_u32_f32_e32 v2, v2
	v_mul_lo_u32 v8, s6, v2
	v_mul_hi_u32 v8, v2, v8
	v_add_u32_e32 v2, v2, v8
	v_mul_hi_u32 v2, v7, v2
	v_mul_lo_u32 v8, v2, s57
	v_add_u32_e32 v9, 1, v2
	v_sub_u32_e32 v7, v7, v8
	v_subrev_u32_e32 v8, s57, v7
	v_cmp_le_u32_e32 vcc, s57, v7
	v_cndmask_b32_e32 v7, v7, v8, vcc
	v_cndmask_b32_e32 v2, v2, v9, vcc
	v_add_u32_e32 v8, 1, v2
	v_cmp_le_u32_e32 vcc, s57, v7
	v_cndmask_b32_e32 v9, v2, v8, vcc
	s_or_b64 exec, exec, s[4:5]
	s_andn2_b64 vcc, exec, s[18:19]
	s_cbranch_vccnz .LBB10_26
.LBB10_40:                              ;   in Loop: Header=BB10_27 Depth=2
	v_add_u32_e32 v33, 1, v9
	v_lshlrev_b64 v[8:9], 1, v[5:6]
	v_mad_u64_u32 v[6:7], s[4:5], v12, s66, v[13:14]
	v_add_co_u32_e32 v8, vcc, v31, v8
	v_addc_co_u32_e32 v9, vcc, v32, v9, vcc
	v_ashrrev_i32_e32 v7, 31, v6
	v_add_co_u32_e32 v2, vcc, 1, v6
	v_addc_co_u32_e32 v10, vcc, 0, v7, vcc
	v_mul_lo_u32 v14, s57, v10
	v_mul_lo_u32 v15, s56, v2
	v_mad_u64_u32 v[10:11], s[6:7], s57, v2, -1
	v_add_u32_e32 v2, v4, v12
	v_mad_u64_u32 v[12:13], s[6:7], s13, v2, v[13:14]
	v_cmp_gt_i32_e64 s[4:5], v33, v6
	v_add3_u32 v11, v15, v11, v14
	s_mov_b64 s[36:37], s[20:21]
	s_mov_b32 s38, s8
	s_branch .LBB10_42
.LBB10_41:                              ;   in Loop: Header=BB10_42 Depth=3
	s_or_b64 exec, exec, s[40:41]
	s_add_i32 s38, s38, 1
	s_add_u32 s36, s36, s22
	s_addc_u32 s37, s37, s23
	s_cmp_lt_i32 s38, s33
	s_cbranch_scc0 .LBB10_26
.LBB10_42:                              ;   Parent Loop BB10_12 Depth=1
                                        ;     Parent Loop BB10_27 Depth=2
                                        ; =>    This Loop Header: Depth=3
                                        ;         Child Loop BB10_56 Depth 4
                                        ;           Child Loop BB10_71 Depth 5
	s_ashr_i32 s39, s38, 31
	s_add_u32 s6, s38, 1
	s_addc_u32 s7, s39, 0
	s_mul_i32 s27, s6, s15
	s_mul_hi_u32 s29, s6, s14
	s_add_i32 s27, s29, s27
	s_mul_i32 s7, s7, s14
	s_add_i32 s27, s27, s7
	s_mul_i32 s6, s6, s14
	s_add_u32 s6, s6, -1
	s_addc_u32 s7, s27, -1
	s_or_b64 s[40:41], s[6:7], s[16:17]
	s_mov_b32 s27, s41
	s_cmp_lg_u64 s[26:27], 0
	s_cbranch_scc0 .LBB10_44
; %bb.43:                               ;   in Loop: Header=BB10_42 Depth=3
	s_ashr_i32 s40, s17, 31
	s_add_u32 s42, s16, s40
	s_mov_b32 s41, s40
	s_addc_u32 s43, s17, s40
	s_xor_b64 s[42:43], s[42:43], s[40:41]
	v_cvt_f32_u32_e32 v2, s42
	v_cvt_f32_u32_e32 v13, s43
	s_sub_u32 s27, 0, s42
	s_subb_u32 s29, 0, s43
	v_mac_f32_e32 v2, 0x4f800000, v13
	v_rcp_f32_e32 v2, v2
	v_mul_f32_e32 v2, 0x5f7ffffc, v2
	v_mul_f32_e32 v13, 0x2f800000, v2
	v_trunc_f32_e32 v13, v13
	v_mac_f32_e32 v2, 0xcf800000, v13
	v_cvt_u32_f32_e32 v13, v13
	v_cvt_u32_f32_e32 v2, v2
	v_readfirstlane_b32 s46, v13
	v_readfirstlane_b32 s44, v2
	s_mul_i32 s45, s27, s46
	s_mul_hi_u32 s48, s27, s44
	s_mul_i32 s47, s29, s44
	s_add_i32 s45, s48, s45
	s_add_i32 s45, s45, s47
	s_mul_i32 s49, s27, s44
	s_mul_i32 s48, s44, s45
	s_mul_hi_u32 s50, s44, s49
	s_mul_hi_u32 s47, s44, s45
	s_add_u32 s48, s50, s48
	s_addc_u32 s47, 0, s47
	s_mul_hi_u32 s51, s46, s49
	s_mul_i32 s49, s46, s49
	s_add_u32 s48, s48, s49
	s_mul_hi_u32 s50, s46, s45
	s_addc_u32 s47, s47, s51
	s_addc_u32 s48, s50, 0
	s_mul_i32 s45, s46, s45
	s_add_u32 s45, s47, s45
	s_addc_u32 s47, 0, s48
	s_add_u32 s48, s44, s45
	s_cselect_b64 s[44:45], -1, 0
	s_cmp_lg_u64 s[44:45], 0
	s_addc_u32 s46, s46, s47
	s_mul_i32 s44, s27, s46
	s_mul_hi_u32 s45, s27, s48
	s_add_i32 s44, s45, s44
	s_mul_i32 s29, s29, s48
	s_add_i32 s44, s44, s29
	s_mul_i32 s27, s27, s48
	s_mul_hi_u32 s45, s46, s27
	s_mul_i32 s47, s46, s27
	s_mul_i32 s50, s48, s44
	s_mul_hi_u32 s27, s48, s27
	s_mul_hi_u32 s49, s48, s44
	s_add_u32 s27, s27, s50
	s_addc_u32 s49, 0, s49
	s_add_u32 s27, s27, s47
	s_mul_hi_u32 s29, s46, s44
	s_addc_u32 s27, s49, s45
	s_addc_u32 s29, s29, 0
	s_mul_i32 s44, s46, s44
	s_add_u32 s27, s27, s44
	s_addc_u32 s29, 0, s29
	s_add_u32 s27, s48, s27
	s_cselect_b64 s[44:45], -1, 0
	s_cmp_lg_u64 s[44:45], 0
	s_addc_u32 s29, s46, s29
	s_ashr_i32 s44, s7, 31
	s_add_u32 s46, s6, s44
	s_mov_b32 s45, s44
	s_addc_u32 s47, s7, s44
	s_xor_b64 s[46:47], s[46:47], s[44:45]
	s_mul_i32 s48, s46, s29
	s_mul_hi_u32 s49, s46, s27
	s_mul_hi_u32 s7, s46, s29
	s_add_u32 s48, s49, s48
	s_addc_u32 s7, 0, s7
	s_mul_hi_u32 s50, s47, s27
	s_mul_i32 s27, s47, s27
	s_add_u32 s27, s48, s27
	s_mul_hi_u32 s49, s47, s29
	s_addc_u32 s7, s7, s50
	s_addc_u32 s27, s49, 0
	s_mul_i32 s29, s47, s29
	s_add_u32 s7, s7, s29
	s_addc_u32 s27, 0, s27
	s_mul_i32 s29, s42, s27
	s_mul_hi_u32 s48, s42, s7
	s_add_i32 s29, s48, s29
	s_mul_i32 s48, s43, s7
	s_add_i32 s29, s29, s48
	s_sub_i32 s50, s47, s29
	s_mul_i32 s48, s42, s7
	s_sub_u32 s46, s46, s48
	s_cselect_b64 s[48:49], -1, 0
	s_cmp_lg_u64 s[48:49], 0
	s_subb_u32 s52, s50, s43
	s_sub_u32 s53, s46, s42
	s_cselect_b64 s[50:51], -1, 0
	s_cmp_lg_u64 s[50:51], 0
	s_subb_u32 s50, s52, 0
	s_cmp_ge_u32 s50, s43
	s_cselect_b32 s51, -1, 0
	s_cmp_ge_u32 s53, s42
	s_cselect_b32 s52, -1, 0
	s_cmp_eq_u32 s50, s43
	s_cselect_b32 s50, s52, s51
	s_add_u32 s51, s7, 1
	s_addc_u32 s52, s27, 0
	s_add_u32 s53, s7, 2
	s_addc_u32 s67, s27, 0
	s_cmp_lg_u32 s50, 0
	s_cselect_b32 s50, s53, s51
	s_cselect_b32 s51, s67, s52
	s_cmp_lg_u64 s[48:49], 0
	s_subb_u32 s29, s47, s29
	s_cmp_ge_u32 s29, s43
	s_cselect_b32 s47, -1, 0
	s_cmp_ge_u32 s46, s42
	s_cselect_b32 s42, -1, 0
	s_cmp_eq_u32 s29, s43
	s_cselect_b32 s29, s42, s47
	s_cmp_lg_u32 s29, 0
	s_cselect_b32 s43, s51, s27
	s_cselect_b32 s42, s50, s7
	s_xor_b64 s[40:41], s[44:45], s[40:41]
	s_xor_b64 s[42:43], s[42:43], s[40:41]
	s_sub_u32 s40, s42, s40
	s_subb_u32 s41, s43, s41
	s_mov_b64 s[42:43], 0
	s_branch .LBB10_45
.LBB10_44:                              ;   in Loop: Header=BB10_42 Depth=3
	s_mov_b64 s[42:43], -1
                                        ; implicit-def: $sgpr40_sgpr41
.LBB10_45:                              ;   in Loop: Header=BB10_42 Depth=3
	v_cvt_f32_u32_e32 v2, s16
	s_andn2_b64 vcc, exec, s[42:43]
	v_mov_b32_e32 v13, s40
	v_mov_b32_e32 v14, s41
	v_rcp_iflag_f32_e32 v2, v2
	s_cbranch_vccnz .LBB10_47
; %bb.46:                               ;   in Loop: Header=BB10_42 Depth=3
	v_mul_f32_e32 v13, 0x4f7ffffe, v2
	v_cvt_u32_f32_e32 v13, v13
	s_sub_i32 s7, 0, s16
	v_mul_lo_u32 v14, s7, v13
	v_mul_hi_u32 v14, v13, v14
	v_add_u32_e32 v13, v13, v14
	v_mul_hi_u32 v13, s6, v13
	v_mul_lo_u32 v14, v13, s16
	v_add_u32_e32 v15, 1, v13
	v_sub_u32_e32 v14, s6, v14
	v_subrev_u32_e32 v16, s16, v14
	v_cmp_le_u32_e32 vcc, s16, v14
	v_cndmask_b32_e32 v14, v14, v16, vcc
	v_cndmask_b32_e32 v13, v13, v15, vcc
	v_add_u32_e32 v15, 1, v13
	v_cmp_le_u32_e32 vcc, s16, v14
	v_cndmask_b32_e32 v13, v13, v15, vcc
.LBB10_47:                              ;   in Loop: Header=BB10_42 Depth=3
	s_or_b64 s[6:7], s[38:39], s[16:17]
	s_mov_b32 s27, s7
	s_cmp_lg_u64 s[26:27], 0
	s_cbranch_scc0 .LBB10_83
; %bb.48:                               ;   in Loop: Header=BB10_42 Depth=3
	s_ashr_i32 s6, s17, 31
	s_add_u32 s40, s16, s6
	s_mov_b32 s7, s6
	s_addc_u32 s41, s17, s6
	s_xor_b64 s[40:41], s[40:41], s[6:7]
	v_cvt_f32_u32_e32 v14, s40
	v_cvt_f32_u32_e32 v15, s41
	s_sub_u32 s27, 0, s40
	s_subb_u32 s29, 0, s41
	v_mac_f32_e32 v14, 0x4f800000, v15
	v_rcp_f32_e32 v14, v14
	v_mul_f32_e32 v14, 0x5f7ffffc, v14
	v_mul_f32_e32 v15, 0x2f800000, v14
	v_trunc_f32_e32 v15, v15
	v_mac_f32_e32 v14, 0xcf800000, v15
	v_cvt_u32_f32_e32 v15, v15
	v_cvt_u32_f32_e32 v14, v14
	v_readfirstlane_b32 s44, v15
	v_readfirstlane_b32 s42, v14
	s_mul_i32 s43, s27, s44
	s_mul_hi_u32 s46, s27, s42
	s_mul_i32 s45, s29, s42
	s_add_i32 s43, s46, s43
	s_add_i32 s43, s43, s45
	s_mul_i32 s47, s27, s42
	s_mul_i32 s46, s42, s43
	s_mul_hi_u32 s48, s42, s47
	s_mul_hi_u32 s45, s42, s43
	s_add_u32 s46, s48, s46
	s_addc_u32 s45, 0, s45
	s_mul_hi_u32 s49, s44, s47
	s_mul_i32 s47, s44, s47
	s_add_u32 s46, s46, s47
	s_mul_hi_u32 s48, s44, s43
	s_addc_u32 s45, s45, s49
	s_addc_u32 s46, s48, 0
	s_mul_i32 s43, s44, s43
	s_add_u32 s43, s45, s43
	s_addc_u32 s45, 0, s46
	s_add_u32 s46, s42, s43
	s_cselect_b64 s[42:43], -1, 0
	s_cmp_lg_u64 s[42:43], 0
	s_addc_u32 s44, s44, s45
	s_mul_i32 s42, s27, s44
	s_mul_hi_u32 s43, s27, s46
	s_add_i32 s42, s43, s42
	s_mul_i32 s29, s29, s46
	s_add_i32 s42, s42, s29
	s_mul_i32 s27, s27, s46
	s_mul_hi_u32 s43, s44, s27
	s_mul_i32 s45, s44, s27
	s_mul_i32 s48, s46, s42
	s_mul_hi_u32 s27, s46, s27
	s_mul_hi_u32 s47, s46, s42
	s_add_u32 s27, s27, s48
	s_addc_u32 s47, 0, s47
	s_add_u32 s27, s27, s45
	s_mul_hi_u32 s29, s44, s42
	s_addc_u32 s27, s47, s43
	s_addc_u32 s29, s29, 0
	s_mul_i32 s42, s44, s42
	s_add_u32 s27, s27, s42
	s_addc_u32 s29, 0, s29
	s_add_u32 s27, s46, s27
	s_cselect_b64 s[42:43], -1, 0
	s_cmp_lg_u64 s[42:43], 0
	s_addc_u32 s29, s44, s29
	s_ashr_i32 s42, s39, 31
	s_add_u32 s44, s38, s42
	s_mov_b32 s43, s42
	s_addc_u32 s45, s39, s42
	s_xor_b64 s[44:45], s[44:45], s[42:43]
	s_mul_i32 s47, s44, s29
	s_mul_hi_u32 s48, s44, s27
	s_mul_hi_u32 s46, s44, s29
	s_add_u32 s47, s48, s47
	s_addc_u32 s46, 0, s46
	s_mul_hi_u32 s49, s45, s27
	s_mul_i32 s27, s45, s27
	s_add_u32 s27, s47, s27
	s_mul_hi_u32 s48, s45, s29
	s_addc_u32 s27, s46, s49
	s_addc_u32 s46, s48, 0
	s_mul_i32 s29, s45, s29
	s_add_u32 s27, s27, s29
	s_addc_u32 s29, 0, s46
	s_mul_i32 s46, s40, s29
	s_mul_hi_u32 s47, s40, s27
	s_add_i32 s46, s47, s46
	s_mul_i32 s47, s41, s27
	s_add_i32 s50, s46, s47
	s_sub_i32 s48, s45, s50
	s_mul_i32 s46, s40, s27
	s_sub_u32 s44, s44, s46
	s_cselect_b64 s[46:47], -1, 0
	s_cmp_lg_u64 s[46:47], 0
	s_subb_u32 s51, s48, s41
	s_sub_u32 s52, s44, s40
	s_cselect_b64 s[48:49], -1, 0
	s_cmp_lg_u64 s[48:49], 0
	s_subb_u32 s48, s51, 0
	s_cmp_ge_u32 s48, s41
	s_cselect_b32 s49, -1, 0
	s_cmp_ge_u32 s52, s40
	s_cselect_b32 s51, -1, 0
	s_cmp_eq_u32 s48, s41
	s_cselect_b32 s48, s51, s49
	s_add_u32 s49, s27, 1
	s_addc_u32 s51, s29, 0
	s_add_u32 s52, s27, 2
	s_addc_u32 s53, s29, 0
	s_cmp_lg_u32 s48, 0
	s_cselect_b32 s48, s52, s49
	s_cselect_b32 s49, s53, s51
	s_cmp_lg_u64 s[46:47], 0
	s_subb_u32 s45, s45, s50
	s_cmp_ge_u32 s45, s41
	s_cselect_b32 s46, -1, 0
	s_cmp_ge_u32 s44, s40
	s_cselect_b32 s40, -1, 0
	s_cmp_eq_u32 s45, s41
	s_cselect_b32 s40, s40, s46
	s_cmp_lg_u32 s40, 0
	s_cselect_b32 s41, s49, s29
	s_cselect_b32 s40, s48, s27
	s_xor_b64 s[6:7], s[42:43], s[6:7]
	s_xor_b64 s[40:41], s[40:41], s[6:7]
	s_sub_u32 s6, s40, s6
	s_subb_u32 s7, s41, s7
	s_cbranch_execnz .LBB10_50
.LBB10_49:                              ;   in Loop: Header=BB10_42 Depth=3
	v_mul_f32_e32 v14, 0x4f7ffffe, v2
	v_cvt_u32_f32_e32 v14, v14
	s_sub_i32 s6, 0, s16
	v_readfirstlane_b32 s7, v14
	s_mul_i32 s6, s6, s7
	s_mul_hi_u32 s6, s7, s6
	s_add_i32 s7, s7, s6
	s_mul_hi_u32 s6, s38, s7
	s_mul_i32 s27, s6, s16
	s_sub_i32 s27, s38, s27
	s_add_i32 s7, s6, 1
	s_sub_i32 s29, s27, s16
	s_cmp_ge_u32 s27, s16
	s_cselect_b32 s6, s7, s6
	s_cselect_b32 s27, s29, s27
	s_add_i32 s7, s6, 1
	s_cmp_ge_u32 s27, s16
	s_cselect_b32 s6, s7, s6
	s_mov_b32 s7, s26
.LBB10_50:                              ;   in Loop: Header=BB10_42 Depth=3
	s_mul_i32 s27, s6, s17
	s_mul_hi_u32 s29, s6, s16
	s_add_i32 s27, s29, s27
	s_mul_i32 s7, s7, s16
	s_add_i32 s27, s27, s7
	s_mul_i32 s7, s6, s16
	s_sub_u32 s7, s38, s7
	s_subb_u32 s27, s39, s27
	s_mul_i32 s29, s7, s15
	s_mul_hi_u32 s39, s7, s14
	s_add_i32 s29, s39, s29
	s_mul_i32 s27, s27, s14
	s_add_i32 s41, s29, s27
	s_mul_i32 s40, s7, s14
	s_or_b64 s[42:43], s[40:41], s[16:17]
	s_mov_b32 s27, s43
	s_cmp_lg_u64 s[26:27], 0
	s_cbranch_scc0 .LBB10_84
; %bb.51:                               ;   in Loop: Header=BB10_42 Depth=3
	s_ashr_i32 s42, s17, 31
	s_add_u32 s44, s16, s42
	s_mov_b32 s43, s42
	s_addc_u32 s45, s17, s42
	s_xor_b64 s[44:45], s[44:45], s[42:43]
	v_cvt_f32_u32_e32 v14, s44
	v_cvt_f32_u32_e32 v15, s45
	s_sub_u32 s7, 0, s44
	s_subb_u32 s27, 0, s45
	v_mac_f32_e32 v14, 0x4f800000, v15
	v_rcp_f32_e32 v14, v14
	v_mul_f32_e32 v14, 0x5f7ffffc, v14
	v_mul_f32_e32 v15, 0x2f800000, v14
	v_trunc_f32_e32 v15, v15
	v_mac_f32_e32 v14, 0xcf800000, v15
	v_cvt_u32_f32_e32 v15, v15
	v_cvt_u32_f32_e32 v14, v14
	v_readfirstlane_b32 s29, v15
	v_readfirstlane_b32 s39, v14
	s_mul_i32 s46, s7, s29
	s_mul_hi_u32 s48, s7, s39
	s_mul_i32 s47, s27, s39
	s_add_i32 s46, s48, s46
	s_add_i32 s46, s46, s47
	s_mul_i32 s49, s7, s39
	s_mul_i32 s48, s39, s46
	s_mul_hi_u32 s50, s39, s49
	s_mul_hi_u32 s47, s39, s46
	s_add_u32 s48, s50, s48
	s_addc_u32 s47, 0, s47
	s_mul_hi_u32 s51, s29, s49
	s_mul_i32 s49, s29, s49
	s_add_u32 s48, s48, s49
	s_mul_hi_u32 s50, s29, s46
	s_addc_u32 s47, s47, s51
	s_addc_u32 s48, s50, 0
	s_mul_i32 s46, s29, s46
	s_add_u32 s46, s47, s46
	s_addc_u32 s48, 0, s48
	s_add_u32 s39, s39, s46
	s_cselect_b64 s[46:47], -1, 0
	s_cmp_lg_u64 s[46:47], 0
	s_addc_u32 s29, s29, s48
	s_mul_i32 s46, s7, s29
	s_mul_hi_u32 s47, s7, s39
	s_add_i32 s46, s47, s46
	s_mul_i32 s27, s27, s39
	s_add_i32 s46, s46, s27
	s_mul_i32 s7, s7, s39
	s_mul_hi_u32 s47, s29, s7
	s_mul_i32 s48, s29, s7
	s_mul_i32 s50, s39, s46
	s_mul_hi_u32 s7, s39, s7
	s_mul_hi_u32 s49, s39, s46
	s_add_u32 s7, s7, s50
	s_addc_u32 s49, 0, s49
	s_add_u32 s7, s7, s48
	s_mul_hi_u32 s27, s29, s46
	s_addc_u32 s7, s49, s47
	s_addc_u32 s27, s27, 0
	s_mul_i32 s46, s29, s46
	s_add_u32 s7, s7, s46
	s_addc_u32 s27, 0, s27
	s_add_u32 s7, s39, s7
	s_cselect_b64 s[46:47], -1, 0
	s_cmp_lg_u64 s[46:47], 0
	s_addc_u32 s27, s29, s27
	s_ashr_i32 s46, s41, 31
	s_add_u32 s48, s40, s46
	s_mov_b32 s47, s46
	s_addc_u32 s49, s41, s46
	s_xor_b64 s[48:49], s[48:49], s[46:47]
	s_mul_i32 s39, s48, s27
	s_mul_hi_u32 s41, s48, s7
	s_mul_hi_u32 s29, s48, s27
	s_add_u32 s39, s41, s39
	s_addc_u32 s29, 0, s29
	s_mul_hi_u32 s50, s49, s7
	s_mul_i32 s7, s49, s7
	s_add_u32 s7, s39, s7
	s_mul_hi_u32 s41, s49, s27
	s_addc_u32 s7, s29, s50
	s_addc_u32 s29, s41, 0
	s_mul_i32 s27, s49, s27
	s_add_u32 s7, s7, s27
	s_addc_u32 s27, 0, s29
	s_mul_i32 s29, s44, s27
	s_mul_hi_u32 s39, s44, s7
	s_add_i32 s29, s39, s29
	s_mul_i32 s39, s45, s7
	s_add_i32 s29, s29, s39
	s_sub_i32 s39, s49, s29
	s_mul_i32 s41, s44, s7
	s_sub_u32 s41, s48, s41
	s_cselect_b64 s[50:51], -1, 0
	s_cmp_lg_u64 s[50:51], 0
	s_subb_u32 s39, s39, s45
	s_sub_u32 s48, s41, s44
	s_cselect_b64 s[52:53], -1, 0
	s_cmp_lg_u64 s[52:53], 0
	s_subb_u32 s39, s39, 0
	s_cmp_ge_u32 s39, s45
	s_cselect_b32 s52, -1, 0
	s_cmp_ge_u32 s48, s44
	s_cselect_b32 s48, -1, 0
	s_cmp_eq_u32 s39, s45
	s_cselect_b32 s39, s48, s52
	s_add_u32 s48, s7, 1
	s_addc_u32 s52, s27, 0
	s_add_u32 s53, s7, 2
	s_addc_u32 s67, s27, 0
	s_cmp_lg_u32 s39, 0
	s_cselect_b32 s39, s53, s48
	s_cselect_b32 s48, s67, s52
	s_cmp_lg_u64 s[50:51], 0
	s_subb_u32 s29, s49, s29
	s_cmp_ge_u32 s29, s45
	s_cselect_b32 s49, -1, 0
	s_cmp_ge_u32 s41, s44
	s_cselect_b32 s41, -1, 0
	s_cmp_eq_u32 s29, s45
	s_cselect_b32 s29, s41, s49
	s_cmp_lg_u32 s29, 0
	s_cselect_b32 s45, s48, s27
	s_cselect_b32 s44, s39, s7
	s_xor_b64 s[42:43], s[46:47], s[42:43]
	s_xor_b64 s[44:45], s[44:45], s[42:43]
	s_sub_u32 s42, s44, s42
	s_subb_u32 s43, s45, s43
	v_mov_b32_e32 v14, s42
	v_mov_b32_e32 v15, s43
	s_cbranch_execnz .LBB10_53
.LBB10_52:                              ;   in Loop: Header=BB10_42 Depth=3
	v_mul_f32_e32 v2, 0x4f7ffffe, v2
	v_cvt_u32_f32_e32 v2, v2
	s_sub_i32 s7, 0, s16
	v_mul_lo_u32 v14, s7, v2
	v_mul_hi_u32 v14, v2, v14
	v_add_u32_e32 v2, v2, v14
	v_mul_hi_u32 v2, s40, v2
	v_mul_lo_u32 v14, v2, s16
	v_add_u32_e32 v15, 1, v2
	v_sub_u32_e32 v14, s40, v14
	v_subrev_u32_e32 v16, s16, v14
	v_cmp_le_u32_e32 vcc, s16, v14
	v_cndmask_b32_e32 v14, v14, v16, vcc
	v_cndmask_b32_e32 v2, v2, v15, vcc
	v_add_u32_e32 v15, 1, v2
	v_cmp_le_u32_e32 vcc, s16, v14
	v_cndmask_b32_e32 v14, v2, v15, vcc
.LBB10_53:                              ;   in Loop: Header=BB10_42 Depth=3
	s_and_saveexec_b64 s[40:41], s[2:3]
	s_cbranch_execz .LBB10_41
; %bb.54:                               ;   in Loop: Header=BB10_42 Depth=3
	s_mul_i32 s6, s6, s14
	v_add_u32_e32 v2, s6, v14
	v_sub_u32_e32 v2, v13, v2
	v_add_u32_e32 v34, 1, v2
	s_mov_b64 s[42:43], 0
	v_mov_b32_e32 v13, v12
	v_mov_b32_e32 v35, v3
	s_branch .LBB10_56
.LBB10_55:                              ;   in Loop: Header=BB10_56 Depth=4
	s_or_b64 exec, exec, s[44:45]
	v_add_u32_e32 v35, 1, v35
	v_cmp_ge_i32_e32 vcc, v35, v30
	s_or_b64 s[42:43], vcc, s[42:43]
	v_add_u32_e32 v13, s13, v13
	s_andn2_b64 exec, exec, s[42:43]
	s_cbranch_execz .LBB10_41
.LBB10_56:                              ;   Parent Loop BB10_12 Depth=1
                                        ;     Parent Loop BB10_27 Depth=2
                                        ;       Parent Loop BB10_42 Depth=3
                                        ; =>      This Loop Header: Depth=4
                                        ;           Child Loop BB10_71 Depth 5
	s_and_saveexec_b64 s[44:45], s[4:5]
	s_cbranch_execz .LBB10_55
; %bb.57:                               ;   in Loop: Header=BB10_56 Depth=4
	v_ashrrev_i32_e32 v14, 31, v35
	v_add_co_u32_e32 v2, vcc, 1, v35
	v_addc_co_u32_e32 v15, vcc, 0, v14, vcc
	v_mul_lo_u32 v16, v2, s54
	v_mul_lo_u32 v15, v15, s55
	v_mad_u64_u32 v[17:18], s[6:7], v2, s55, -1
	v_add3_u32 v18, v15, v18, v16
	v_or_b32_e32 v2, s60, v18
	v_cmp_ne_u64_e32 vcc, 0, v[1:2]
                                        ; implicit-def: $vgpr15_vgpr16
	s_and_saveexec_b64 s[6:7], vcc
	s_xor_b64 s[46:47], exec, s[6:7]
	s_cbranch_execz .LBB10_59
; %bb.58:                               ;   in Loop: Header=BB10_56 Depth=4
	s_ashr_i32 s48, s60, 31
	s_add_u32 s6, s65, s48
	s_mov_b32 s49, s48
	s_addc_u32 s7, s60, s48
	s_xor_b64 s[50:51], s[6:7], s[48:49]
	v_cvt_f32_u32_e32 v2, s50
	v_cvt_f32_u32_e32 v15, s51
	s_sub_u32 s27, 0, s50
	s_subb_u32 s29, 0, s51
	v_mac_f32_e32 v2, 0x4f800000, v15
	v_rcp_f32_e32 v2, v2
	v_mul_f32_e32 v2, 0x5f7ffffc, v2
	v_mul_f32_e32 v15, 0x2f800000, v2
	v_trunc_f32_e32 v15, v15
	v_mac_f32_e32 v2, 0xcf800000, v15
	v_cvt_u32_f32_e32 v15, v15
	v_cvt_u32_f32_e32 v2, v2
	v_readfirstlane_b32 s39, v15
	v_readfirstlane_b32 s6, v2
	s_mul_i32 s7, s27, s39
	s_mul_hi_u32 s52, s27, s6
	s_mul_i32 s49, s29, s6
	s_add_i32 s7, s52, s7
	s_add_i32 s7, s7, s49
	s_mul_i32 s53, s27, s6
	s_mul_i32 s52, s6, s7
	s_mul_hi_u32 s67, s6, s53
	s_mul_hi_u32 s49, s6, s7
	s_add_u32 s52, s67, s52
	s_addc_u32 s49, 0, s49
	s_mul_hi_u32 s68, s39, s53
	s_mul_i32 s53, s39, s53
	s_add_u32 s52, s52, s53
	s_mul_hi_u32 s67, s39, s7
	s_addc_u32 s49, s49, s68
	s_addc_u32 s52, s67, 0
	s_mul_i32 s7, s39, s7
	s_add_u32 s7, s49, s7
	s_addc_u32 s49, 0, s52
	s_add_u32 s52, s6, s7
	s_cselect_b64 s[6:7], -1, 0
	s_cmp_lg_u64 s[6:7], 0
	s_addc_u32 s39, s39, s49
	s_mul_i32 s6, s27, s39
	s_mul_hi_u32 s7, s27, s52
	s_add_i32 s6, s7, s6
	s_mul_i32 s29, s29, s52
	s_add_i32 s6, s6, s29
	s_mul_i32 s27, s27, s52
	s_mul_hi_u32 s29, s39, s27
	s_mul_i32 s49, s39, s27
	s_mul_i32 s67, s52, s6
	s_mul_hi_u32 s27, s52, s27
	s_mul_hi_u32 s53, s52, s6
	s_add_u32 s27, s27, s67
	s_addc_u32 s53, 0, s53
	s_add_u32 s27, s27, s49
	s_mul_hi_u32 s7, s39, s6
	s_addc_u32 s27, s53, s29
	s_addc_u32 s7, s7, 0
	s_mul_i32 s6, s39, s6
	s_add_u32 s6, s27, s6
	s_addc_u32 s27, 0, s7
	s_add_u32 s29, s52, s6
	s_cselect_b64 s[6:7], -1, 0
	v_ashrrev_i32_e32 v2, 31, v18
	s_cmp_lg_u64 s[6:7], 0
	v_add_co_u32_e32 v15, vcc, v17, v2
	s_addc_u32 s27, s39, s27
	v_xor_b32_e32 v19, v15, v2
	v_addc_co_u32_e32 v17, vcc, v18, v2, vcc
	v_mad_u64_u32 v[15:16], s[6:7], v19, s27, 0
	v_mul_hi_u32 v18, v19, s29
	v_xor_b32_e32 v20, v17, v2
	v_xor_b32_e32 v2, s48, v2
	v_add_co_u32_e32 v21, vcc, v18, v15
	v_addc_co_u32_e32 v22, vcc, 0, v16, vcc
	v_mad_u64_u32 v[15:16], s[6:7], v20, s29, 0
	v_mad_u64_u32 v[17:18], s[6:7], v20, s27, 0
	v_add_co_u32_e32 v15, vcc, v21, v15
	v_addc_co_u32_e32 v15, vcc, v22, v16, vcc
	v_addc_co_u32_e32 v16, vcc, 0, v18, vcc
	v_add_co_u32_e32 v17, vcc, v15, v17
	v_addc_co_u32_e32 v15, vcc, 0, v16, vcc
	v_mul_lo_u32 v18, s51, v17
	v_mul_lo_u32 v21, s50, v15
	v_mad_u64_u32 v[15:16], s[6:7], s50, v17, 0
	v_add3_u32 v16, v16, v21, v18
	v_sub_u32_e32 v18, v20, v16
	v_mov_b32_e32 v21, s51
	v_sub_co_u32_e32 v15, vcc, v19, v15
	v_subb_co_u32_e64 v18, s[6:7], v18, v21, vcc
	v_subrev_co_u32_e64 v19, s[6:7], s50, v15
	v_subbrev_co_u32_e64 v18, s[6:7], 0, v18, s[6:7]
	v_cmp_le_u32_e64 s[6:7], s51, v18
	v_subb_co_u32_e32 v16, vcc, v20, v16, vcc
	v_cndmask_b32_e64 v21, 0, -1, s[6:7]
	v_cmp_le_u32_e64 s[6:7], s50, v19
	v_cmp_le_u32_e32 vcc, s51, v16
	v_cndmask_b32_e64 v19, 0, -1, s[6:7]
	v_cmp_eq_u32_e64 s[6:7], s51, v18
	v_cndmask_b32_e64 v20, 0, -1, vcc
	v_cmp_le_u32_e32 vcc, s50, v15
	v_cndmask_b32_e64 v18, v21, v19, s[6:7]
	v_cndmask_b32_e64 v15, 0, -1, vcc
	v_cmp_eq_u32_e32 vcc, s51, v16
	v_add_co_u32_e64 v19, s[6:7], 2, v17
	v_add_co_u32_e64 v21, s[6:7], 1, v17
	v_cndmask_b32_e32 v15, v20, v15, vcc
	v_cmp_ne_u32_e32 vcc, 0, v18
	v_cndmask_b32_e32 v16, v21, v19, vcc
	v_cmp_ne_u32_e32 vcc, 0, v15
	v_cndmask_b32_e32 v15, v17, v16, vcc
	v_xor_b32_e32 v15, v15, v2
	v_sub_co_u32_e32 v15, vcc, v15, v2
                                        ; implicit-def: $vgpr17_vgpr18
.LBB10_59:                              ;   in Loop: Header=BB10_56 Depth=4
	s_or_saveexec_b64 s[46:47], s[46:47]
	v_cvt_f32_u32_e32 v2, s65
	v_rcp_iflag_f32_e32 v21, v2
	s_xor_b64 exec, exec, s[46:47]
	s_cbranch_execz .LBB10_61
; %bb.60:                               ;   in Loop: Header=BB10_56 Depth=4
	v_mul_f32_e32 v2, 0x4f7ffffe, v21
	v_cvt_u32_f32_e32 v2, v2
	s_sub_i32 s6, 0, s65
	v_mul_lo_u32 v15, s6, v2
	v_mul_hi_u32 v15, v2, v15
	v_add_u32_e32 v2, v2, v15
	v_mul_hi_u32 v2, v17, v2
	v_mul_lo_u32 v15, v2, s65
	v_sub_u32_e32 v15, v17, v15
	v_cmp_le_u32_e32 vcc, s65, v15
	v_subrev_u32_e32 v16, s65, v15
	v_cndmask_b32_e32 v15, v15, v16, vcc
	v_cmp_le_u32_e64 s[6:7], s65, v15
	v_add_u32_e32 v15, 1, v2
	v_cndmask_b32_e32 v2, v2, v15, vcc
	v_add_u32_e32 v15, 1, v2
	v_cndmask_b32_e64 v15, v2, v15, s[6:7]
.LBB10_61:                              ;   in Loop: Header=BB10_56 Depth=4
	s_or_b64 exec, exec, s[46:47]
	v_or_b32_e32 v2, s60, v14
	v_cmp_ne_u64_e32 vcc, 0, v[1:2]
                                        ; implicit-def: $vgpr16_vgpr17
	s_and_saveexec_b64 s[6:7], vcc
	s_xor_b64 s[46:47], exec, s[6:7]
	s_cbranch_execz .LBB10_63
; %bb.62:                               ;   in Loop: Header=BB10_56 Depth=4
	s_ashr_i32 s48, s60, 31
	s_add_u32 s6, s65, s48
	s_mov_b32 s49, s48
	s_addc_u32 s7, s60, s48
	s_xor_b64 s[50:51], s[6:7], s[48:49]
	v_cvt_f32_u32_e32 v2, s50
	v_cvt_f32_u32_e32 v16, s51
	s_sub_u32 s27, 0, s50
	s_subb_u32 s29, 0, s51
	v_mac_f32_e32 v2, 0x4f800000, v16
	v_rcp_f32_e32 v2, v2
	v_mul_f32_e32 v2, 0x5f7ffffc, v2
	v_mul_f32_e32 v16, 0x2f800000, v2
	v_trunc_f32_e32 v16, v16
	v_mac_f32_e32 v2, 0xcf800000, v16
	v_cvt_u32_f32_e32 v16, v16
	v_cvt_u32_f32_e32 v2, v2
	v_readfirstlane_b32 s39, v16
	v_readfirstlane_b32 s6, v2
	s_mul_i32 s7, s27, s39
	s_mul_hi_u32 s52, s27, s6
	s_mul_i32 s49, s29, s6
	s_add_i32 s7, s52, s7
	s_add_i32 s7, s7, s49
	s_mul_i32 s53, s27, s6
	s_mul_i32 s52, s6, s7
	s_mul_hi_u32 s67, s6, s53
	s_mul_hi_u32 s49, s6, s7
	s_add_u32 s52, s67, s52
	s_addc_u32 s49, 0, s49
	s_mul_hi_u32 s68, s39, s53
	s_mul_i32 s53, s39, s53
	s_add_u32 s52, s52, s53
	s_mul_hi_u32 s67, s39, s7
	s_addc_u32 s49, s49, s68
	s_addc_u32 s52, s67, 0
	s_mul_i32 s7, s39, s7
	s_add_u32 s7, s49, s7
	s_addc_u32 s49, 0, s52
	s_add_u32 s52, s6, s7
	s_cselect_b64 s[6:7], -1, 0
	s_cmp_lg_u64 s[6:7], 0
	s_addc_u32 s39, s39, s49
	s_mul_i32 s6, s27, s39
	s_mul_hi_u32 s7, s27, s52
	s_add_i32 s6, s7, s6
	s_mul_i32 s29, s29, s52
	s_add_i32 s6, s6, s29
	s_mul_i32 s27, s27, s52
	s_mul_hi_u32 s29, s39, s27
	s_mul_i32 s49, s39, s27
	s_mul_i32 s67, s52, s6
	s_mul_hi_u32 s27, s52, s27
	s_mul_hi_u32 s53, s52, s6
	s_add_u32 s27, s27, s67
	s_addc_u32 s53, 0, s53
	s_add_u32 s27, s27, s49
	s_mul_hi_u32 s7, s39, s6
	s_addc_u32 s27, s53, s29
	s_addc_u32 s7, s7, 0
	s_mul_i32 s6, s39, s6
	s_add_u32 s6, s27, s6
	s_addc_u32 s27, 0, s7
	s_add_u32 s29, s52, s6
	s_cselect_b64 s[6:7], -1, 0
	v_ashrrev_i32_e32 v2, 31, v14
	s_cmp_lg_u64 s[6:7], 0
	v_add_co_u32_e32 v16, vcc, v35, v2
	s_addc_u32 s27, s39, s27
	v_xor_b32_e32 v20, v16, v2
	v_mad_u64_u32 v[16:17], s[6:7], v20, s27, 0
	v_mul_hi_u32 v19, v20, s29
	v_addc_co_u32_e32 v18, vcc, v14, v2, vcc
	v_xor_b32_e32 v22, v18, v2
	v_add_co_u32_e32 v23, vcc, v19, v16
	v_addc_co_u32_e32 v24, vcc, 0, v17, vcc
	v_mad_u64_u32 v[16:17], s[6:7], v22, s29, 0
	v_mad_u64_u32 v[18:19], s[6:7], v22, s27, 0
	v_add_co_u32_e32 v16, vcc, v23, v16
	v_addc_co_u32_e32 v16, vcc, v24, v17, vcc
	v_addc_co_u32_e32 v17, vcc, 0, v19, vcc
	v_add_co_u32_e32 v18, vcc, v16, v18
	v_addc_co_u32_e32 v19, vcc, 0, v17, vcc
	v_mul_lo_u32 v23, s51, v18
	v_mul_lo_u32 v24, s50, v19
	v_mad_u64_u32 v[16:17], s[6:7], s50, v18, 0
	v_xor_b32_e32 v2, s48, v2
	v_add3_u32 v17, v17, v24, v23
	v_sub_u32_e32 v23, v22, v17
	v_mov_b32_e32 v24, s51
	v_sub_co_u32_e32 v16, vcc, v20, v16
	v_subb_co_u32_e64 v20, s[6:7], v23, v24, vcc
	v_subrev_co_u32_e64 v23, s[6:7], s50, v16
	v_subbrev_co_u32_e64 v20, s[6:7], 0, v20, s[6:7]
	v_cmp_le_u32_e64 s[6:7], s51, v20
	v_cndmask_b32_e64 v24, 0, -1, s[6:7]
	v_cmp_le_u32_e64 s[6:7], s50, v23
	v_cndmask_b32_e64 v23, 0, -1, s[6:7]
	v_cmp_eq_u32_e64 s[6:7], s51, v20
	v_cndmask_b32_e64 v20, v24, v23, s[6:7]
	v_add_co_u32_e64 v23, s[6:7], 2, v18
	v_subb_co_u32_e32 v17, vcc, v22, v17, vcc
	v_addc_co_u32_e64 v24, s[6:7], 0, v19, s[6:7]
	v_cmp_le_u32_e32 vcc, s51, v17
	v_add_co_u32_e64 v25, s[6:7], 1, v18
	v_cndmask_b32_e64 v22, 0, -1, vcc
	v_cmp_le_u32_e32 vcc, s50, v16
	v_addc_co_u32_e64 v26, s[6:7], 0, v19, s[6:7]
	v_cndmask_b32_e64 v16, 0, -1, vcc
	v_cmp_eq_u32_e32 vcc, s51, v17
	v_cmp_ne_u32_e64 s[6:7], 0, v20
	v_cndmask_b32_e32 v16, v22, v16, vcc
	v_cndmask_b32_e64 v20, v26, v24, s[6:7]
	v_cmp_ne_u32_e32 vcc, 0, v16
	v_cndmask_b32_e64 v17, v25, v23, s[6:7]
	v_cndmask_b32_e32 v16, v19, v20, vcc
	v_cndmask_b32_e32 v17, v18, v17, vcc
	v_xor_b32_e32 v18, v16, v2
	v_xor_b32_e32 v16, v17, v2
	v_sub_co_u32_e32 v16, vcc, v16, v2
	v_subb_co_u32_e32 v17, vcc, v18, v2, vcc
.LBB10_63:                              ;   in Loop: Header=BB10_56 Depth=4
	s_andn2_saveexec_b64 s[6:7], s[46:47]
	s_cbranch_execz .LBB10_65
; %bb.64:                               ;   in Loop: Header=BB10_56 Depth=4
	v_mul_f32_e32 v2, 0x4f7ffffe, v21
	v_cvt_u32_f32_e32 v2, v2
	s_sub_i32 s27, 0, s65
	v_mul_lo_u32 v16, s27, v2
	v_mul_hi_u32 v16, v2, v16
	v_add_u32_e32 v2, v2, v16
	v_mul_hi_u32 v2, v35, v2
	v_mul_lo_u32 v16, v2, s65
	v_add_u32_e32 v17, 1, v2
	v_sub_u32_e32 v16, v35, v16
	v_subrev_u32_e32 v18, s65, v16
	v_cmp_le_u32_e32 vcc, s65, v16
	v_cndmask_b32_e32 v16, v16, v18, vcc
	v_cndmask_b32_e32 v2, v2, v17, vcc
	v_add_u32_e32 v17, 1, v2
	v_cmp_le_u32_e32 vcc, s65, v16
	v_cndmask_b32_e32 v16, v2, v17, vcc
	v_mov_b32_e32 v17, v1
.LBB10_65:                              ;   in Loop: Header=BB10_56 Depth=4
	s_or_b64 exec, exec, s[6:7]
	v_mul_lo_u32 v2, v17, s65
	v_mul_lo_u32 v19, v16, s60
	v_mad_u64_u32 v[17:18], s[6:7], v16, s65, 0
	v_add3_u32 v2, v18, v19, v2
	v_sub_co_u32_e32 v17, vcc, v35, v17
	v_subb_co_u32_e32 v2, vcc, v14, v2, vcc
	v_mul_lo_u32 v2, v2, s55
	v_mul_lo_u32 v14, v17, s54
	v_mad_u64_u32 v[17:18], s[6:7], v17, s55, 0
                                        ; implicit-def: $vgpr19_vgpr20
	v_add3_u32 v18, v18, v14, v2
	v_or_b32_e32 v2, s60, v18
	v_cmp_ne_u64_e32 vcc, 0, v[1:2]
	s_and_saveexec_b64 s[6:7], vcc
	s_xor_b64 s[46:47], exec, s[6:7]
	s_cbranch_execz .LBB10_67
; %bb.66:                               ;   in Loop: Header=BB10_56 Depth=4
	s_ashr_i32 s48, s60, 31
	s_add_u32 s6, s65, s48
	s_mov_b32 s49, s48
	s_addc_u32 s7, s60, s48
	s_xor_b64 s[50:51], s[6:7], s[48:49]
	v_cvt_f32_u32_e32 v2, s50
	v_cvt_f32_u32_e32 v14, s51
	s_sub_u32 s27, 0, s50
	s_subb_u32 s29, 0, s51
	v_mac_f32_e32 v2, 0x4f800000, v14
	v_rcp_f32_e32 v2, v2
	v_mul_f32_e32 v2, 0x5f7ffffc, v2
	v_mul_f32_e32 v14, 0x2f800000, v2
	v_trunc_f32_e32 v14, v14
	v_mac_f32_e32 v2, 0xcf800000, v14
	v_cvt_u32_f32_e32 v14, v14
	v_cvt_u32_f32_e32 v2, v2
	v_readfirstlane_b32 s39, v14
	v_readfirstlane_b32 s6, v2
	s_mul_i32 s7, s27, s39
	s_mul_hi_u32 s52, s27, s6
	s_mul_i32 s49, s29, s6
	s_add_i32 s7, s52, s7
	s_add_i32 s7, s7, s49
	s_mul_i32 s53, s27, s6
	s_mul_i32 s52, s6, s7
	s_mul_hi_u32 s67, s6, s53
	s_mul_hi_u32 s49, s6, s7
	s_add_u32 s52, s67, s52
	s_addc_u32 s49, 0, s49
	s_mul_hi_u32 s68, s39, s53
	s_mul_i32 s53, s39, s53
	s_add_u32 s52, s52, s53
	s_mul_hi_u32 s67, s39, s7
	s_addc_u32 s49, s49, s68
	s_addc_u32 s52, s67, 0
	s_mul_i32 s7, s39, s7
	s_add_u32 s7, s49, s7
	s_addc_u32 s49, 0, s52
	s_add_u32 s52, s6, s7
	s_cselect_b64 s[6:7], -1, 0
	s_cmp_lg_u64 s[6:7], 0
	s_addc_u32 s39, s39, s49
	s_mul_i32 s6, s27, s39
	s_mul_hi_u32 s7, s27, s52
	s_add_i32 s6, s7, s6
	s_mul_i32 s29, s29, s52
	s_add_i32 s6, s6, s29
	s_mul_i32 s27, s27, s52
	s_mul_hi_u32 s29, s39, s27
	s_mul_i32 s49, s39, s27
	s_mul_i32 s67, s52, s6
	s_mul_hi_u32 s27, s52, s27
	s_mul_hi_u32 s53, s52, s6
	s_add_u32 s27, s27, s67
	s_addc_u32 s53, 0, s53
	s_add_u32 s27, s27, s49
	s_mul_hi_u32 s7, s39, s6
	s_addc_u32 s27, s53, s29
	s_addc_u32 s7, s7, 0
	s_mul_i32 s6, s39, s6
	s_add_u32 s6, s27, s6
	s_addc_u32 s27, 0, s7
	s_add_u32 s29, s52, s6
	s_cselect_b64 s[6:7], -1, 0
	v_ashrrev_i32_e32 v2, 31, v18
	s_cmp_lg_u64 s[6:7], 0
	v_add_co_u32_e32 v14, vcc, v17, v2
	s_addc_u32 s27, s39, s27
	v_xor_b32_e32 v14, v14, v2
	v_addc_co_u32_e32 v19, vcc, v18, v2, vcc
	v_mad_u64_u32 v[17:18], s[6:7], v14, s27, 0
	v_mul_hi_u32 v20, v14, s29
	v_xor_b32_e32 v21, v19, v2
	v_xor_b32_e32 v2, s48, v2
	v_add_co_u32_e32 v22, vcc, v20, v17
	v_addc_co_u32_e32 v23, vcc, 0, v18, vcc
	v_mad_u64_u32 v[17:18], s[6:7], v21, s29, 0
	v_mad_u64_u32 v[19:20], s[6:7], v21, s27, 0
	v_add_co_u32_e32 v17, vcc, v22, v17
	v_addc_co_u32_e32 v17, vcc, v23, v18, vcc
	v_addc_co_u32_e32 v18, vcc, 0, v20, vcc
	v_add_co_u32_e32 v19, vcc, v17, v19
	v_addc_co_u32_e32 v17, vcc, 0, v18, vcc
	v_mul_lo_u32 v20, s51, v19
	v_mul_lo_u32 v22, s50, v17
	v_mad_u64_u32 v[17:18], s[6:7], s50, v19, 0
	v_add3_u32 v18, v18, v22, v20
	v_sub_u32_e32 v20, v21, v18
	v_mov_b32_e32 v22, s51
	v_sub_co_u32_e32 v14, vcc, v14, v17
	v_subb_co_u32_e64 v17, s[6:7], v20, v22, vcc
	v_subrev_co_u32_e64 v20, s[6:7], s50, v14
	v_subbrev_co_u32_e64 v17, s[6:7], 0, v17, s[6:7]
	v_cmp_le_u32_e64 s[6:7], s51, v17
	v_subb_co_u32_e32 v18, vcc, v21, v18, vcc
	v_cndmask_b32_e64 v22, 0, -1, s[6:7]
	v_cmp_le_u32_e64 s[6:7], s50, v20
	v_cmp_le_u32_e32 vcc, s51, v18
	v_cndmask_b32_e64 v20, 0, -1, s[6:7]
	v_cmp_eq_u32_e64 s[6:7], s51, v17
	v_cndmask_b32_e64 v21, 0, -1, vcc
	v_cmp_le_u32_e32 vcc, s50, v14
	v_cndmask_b32_e64 v17, v22, v20, s[6:7]
	v_cndmask_b32_e64 v14, 0, -1, vcc
	v_cmp_eq_u32_e32 vcc, s51, v18
	v_add_co_u32_e64 v20, s[6:7], 2, v19
	v_add_co_u32_e64 v22, s[6:7], 1, v19
	v_cndmask_b32_e32 v14, v21, v14, vcc
	v_cmp_ne_u32_e32 vcc, 0, v17
	v_cndmask_b32_e32 v17, v22, v20, vcc
	v_cmp_ne_u32_e32 vcc, 0, v14
	v_cndmask_b32_e32 v14, v19, v17, vcc
	v_xor_b32_e32 v14, v14, v2
	v_sub_co_u32_e32 v19, vcc, v14, v2
                                        ; implicit-def: $vgpr21
                                        ; implicit-def: $vgpr17_vgpr18
.LBB10_67:                              ;   in Loop: Header=BB10_56 Depth=4
	s_andn2_saveexec_b64 s[6:7], s[46:47]
	s_cbranch_execz .LBB10_69
; %bb.68:                               ;   in Loop: Header=BB10_56 Depth=4
	v_mul_f32_e32 v2, 0x4f7ffffe, v21
	v_cvt_u32_f32_e32 v2, v2
	s_sub_i32 s27, 0, s65
	v_mul_lo_u32 v14, s27, v2
	v_mul_hi_u32 v14, v2, v14
	v_add_u32_e32 v2, v2, v14
	v_mul_hi_u32 v2, v17, v2
	v_mul_lo_u32 v14, v2, s65
	v_add_u32_e32 v18, 1, v2
	v_sub_u32_e32 v14, v17, v14
	v_subrev_u32_e32 v17, s65, v14
	v_cmp_le_u32_e32 vcc, s65, v14
	v_cndmask_b32_e32 v14, v14, v17, vcc
	v_cndmask_b32_e32 v2, v2, v18, vcc
	v_add_u32_e32 v17, 1, v2
	v_cmp_le_u32_e32 vcc, s65, v14
	v_cndmask_b32_e32 v19, v2, v17, vcc
.LBB10_69:                              ;   in Loop: Header=BB10_56 Depth=4
	s_or_b64 exec, exec, s[6:7]
	global_load_ushort v36, v[8:9], off
	v_mad_u64_u32 v[16:17], s[6:7], v16, s55, v[19:20]
	v_ashrrev_i32_e32 v14, 31, v13
	v_lshlrev_b64 v[17:18], 1, v[13:14]
	v_sub_u32_e32 v14, v15, v16
	v_mul_lo_u32 v16, v34, v14
	v_mov_b32_e32 v2, s37
	v_add_co_u32_e32 v14, vcc, s36, v17
	v_addc_co_u32_e32 v15, vcc, v2, v18, vcc
	v_mov_b32_e32 v18, v11
	v_mov_b32_e32 v20, v7
	v_add_u32_e32 v16, v16, v34
	s_mov_b64 s[46:47], 0
	v_mov_b32_e32 v17, v10
	v_mov_b32_e32 v19, v6
	s_branch .LBB10_71
.LBB10_70:                              ;   in Loop: Header=BB10_71 Depth=5
	s_or_b64 exec, exec, s[6:7]
	global_load_ushort v2, v[14:15], off
	v_mad_u64_u32 v[22:23], s[6:7], v22, s57, v[25:26]
	v_sub_u32_e32 v21, v21, v22
	v_mad_u64_u32 v[21:22], s[6:7], v16, v21, v[16:17]
	v_cvt_f32_i32_e32 v21, v21
	s_waitcnt vmcnt(0)
	v_cvt_f32_f16_e32 v2, v2
	v_div_scale_f32 v22, s[6:7], v21, v21, v2
	v_div_scale_f32 v23, vcc, v2, v21, v2
	v_rcp_f32_e32 v24, v22
	v_fma_f32 v25, -v22, v24, 1.0
	v_fmac_f32_e32 v24, v25, v24
	v_mul_f32_e32 v25, v23, v24
	v_fma_f32 v26, -v22, v25, v23
	v_fmac_f32_e32 v25, v26, v24
	v_fma_f32 v22, -v22, v25, v23
	v_div_fmas_f32 v22, v22, v24, v25
	v_add_co_u32_e32 v19, vcc, 1, v19
	v_addc_co_u32_e32 v20, vcc, 0, v20, vcc
	v_add_co_u32_e32 v14, vcc, 2, v14
	v_addc_co_u32_e32 v15, vcc, 0, v15, vcc
	v_cmp_ge_i32_e32 vcc, v19, v33
	s_or_b64 s[46:47], vcc, s[46:47]
	v_add_co_u32_e32 v17, vcc, s57, v17
	v_div_fixup_f32 v2, v22, v21, v2
	v_cvt_f16_f32_e32 v2, v2
	v_mov_b32_e32 v21, s56
	v_addc_co_u32_e32 v18, vcc, v18, v21, vcc
	v_add_f16_e32 v36, v36, v2
	global_store_short v[8:9], v36, off
	s_andn2_b64 exec, exec, s[46:47]
	s_cbranch_execz .LBB10_55
.LBB10_71:                              ;   Parent Loop BB10_12 Depth=1
                                        ;     Parent Loop BB10_27 Depth=2
                                        ;       Parent Loop BB10_42 Depth=3
                                        ;         Parent Loop BB10_56 Depth=4
                                        ; =>        This Inner Loop Header: Depth=5
	v_or_b32_e32 v2, s61, v18
	v_cmp_ne_u64_e32 vcc, 0, v[1:2]
                                        ; implicit-def: $vgpr21_vgpr22
	s_and_saveexec_b64 s[6:7], vcc
	s_xor_b64 s[48:49], exec, s[6:7]
	s_cbranch_execz .LBB10_73
; %bb.72:                               ;   in Loop: Header=BB10_71 Depth=5
	s_ashr_i32 s50, s61, 31
	s_add_u32 s6, s66, s50
	s_mov_b32 s51, s50
	s_addc_u32 s7, s61, s50
	s_xor_b64 s[52:53], s[6:7], s[50:51]
	v_cvt_f32_u32_e32 v2, s52
	v_cvt_f32_u32_e32 v21, s53
	s_sub_u32 s27, 0, s52
	s_subb_u32 s29, 0, s53
	v_mac_f32_e32 v2, 0x4f800000, v21
	v_rcp_f32_e32 v2, v2
	v_mul_f32_e32 v2, 0x5f7ffffc, v2
	v_mul_f32_e32 v21, 0x2f800000, v2
	v_trunc_f32_e32 v21, v21
	v_mac_f32_e32 v2, 0xcf800000, v21
	v_cvt_u32_f32_e32 v21, v21
	v_cvt_u32_f32_e32 v2, v2
	v_readfirstlane_b32 s39, v21
	v_readfirstlane_b32 s6, v2
	s_mul_i32 s7, s27, s39
	s_mul_hi_u32 s67, s27, s6
	s_mul_i32 s51, s29, s6
	s_add_i32 s7, s67, s7
	s_add_i32 s7, s7, s51
	s_mul_i32 s68, s27, s6
	s_mul_i32 s67, s6, s7
	s_mul_hi_u32 s69, s6, s68
	s_mul_hi_u32 s51, s6, s7
	s_add_u32 s67, s69, s67
	s_addc_u32 s51, 0, s51
	s_mul_hi_u32 s70, s39, s68
	s_mul_i32 s68, s39, s68
	s_add_u32 s67, s67, s68
	s_mul_hi_u32 s69, s39, s7
	s_addc_u32 s51, s51, s70
	s_addc_u32 s67, s69, 0
	s_mul_i32 s7, s39, s7
	s_add_u32 s7, s51, s7
	s_addc_u32 s51, 0, s67
	s_add_u32 s67, s6, s7
	s_cselect_b64 s[6:7], -1, 0
	s_cmp_lg_u64 s[6:7], 0
	s_addc_u32 s39, s39, s51
	s_mul_i32 s6, s27, s39
	s_mul_hi_u32 s7, s27, s67
	s_add_i32 s6, s7, s6
	s_mul_i32 s29, s29, s67
	s_add_i32 s6, s6, s29
	s_mul_i32 s27, s27, s67
	s_mul_hi_u32 s29, s39, s27
	s_mul_i32 s51, s39, s27
	s_mul_i32 s69, s67, s6
	s_mul_hi_u32 s27, s67, s27
	s_mul_hi_u32 s68, s67, s6
	s_add_u32 s27, s27, s69
	s_addc_u32 s68, 0, s68
	s_add_u32 s27, s27, s51
	s_mul_hi_u32 s7, s39, s6
	s_addc_u32 s27, s68, s29
	s_addc_u32 s7, s7, 0
	s_mul_i32 s6, s39, s6
	s_add_u32 s6, s27, s6
	s_addc_u32 s27, 0, s7
	s_add_u32 s29, s67, s6
	s_cselect_b64 s[6:7], -1, 0
	v_ashrrev_i32_e32 v2, 31, v18
	s_cmp_lg_u64 s[6:7], 0
	v_add_co_u32_e32 v21, vcc, v17, v2
	s_addc_u32 s27, s39, s27
	v_xor_b32_e32 v25, v21, v2
	v_mad_u64_u32 v[21:22], s[6:7], v25, s27, 0
	v_mul_hi_u32 v24, v25, s29
	v_addc_co_u32_e32 v23, vcc, v18, v2, vcc
	v_xor_b32_e32 v26, v23, v2
	v_add_co_u32_e32 v37, vcc, v24, v21
	v_addc_co_u32_e32 v38, vcc, 0, v22, vcc
	v_mad_u64_u32 v[21:22], s[6:7], v26, s29, 0
	v_mad_u64_u32 v[23:24], s[6:7], v26, s27, 0
	v_add_co_u32_e32 v21, vcc, v37, v21
	v_addc_co_u32_e32 v21, vcc, v38, v22, vcc
	v_addc_co_u32_e32 v22, vcc, 0, v24, vcc
	v_add_co_u32_e32 v23, vcc, v21, v23
	v_addc_co_u32_e32 v21, vcc, 0, v22, vcc
	v_mul_lo_u32 v24, s53, v23
	v_mul_lo_u32 v37, s52, v21
	v_mad_u64_u32 v[21:22], s[6:7], s52, v23, 0
	v_xor_b32_e32 v2, s50, v2
	v_add3_u32 v22, v22, v37, v24
	v_sub_u32_e32 v24, v26, v22
	v_mov_b32_e32 v37, s53
	v_sub_co_u32_e32 v21, vcc, v25, v21
	v_subb_co_u32_e64 v24, s[6:7], v24, v37, vcc
	v_subrev_co_u32_e64 v25, s[6:7], s52, v21
	v_subbrev_co_u32_e64 v24, s[6:7], 0, v24, s[6:7]
	v_cmp_le_u32_e64 s[6:7], s53, v24
	v_subb_co_u32_e32 v22, vcc, v26, v22, vcc
	v_cndmask_b32_e64 v37, 0, -1, s[6:7]
	v_cmp_le_u32_e64 s[6:7], s52, v25
	v_cmp_le_u32_e32 vcc, s53, v22
	v_cndmask_b32_e64 v25, 0, -1, s[6:7]
	v_cmp_eq_u32_e64 s[6:7], s53, v24
	v_cndmask_b32_e64 v26, 0, -1, vcc
	v_cmp_le_u32_e32 vcc, s52, v21
	v_cndmask_b32_e64 v24, v37, v25, s[6:7]
	v_cndmask_b32_e64 v21, 0, -1, vcc
	v_cmp_eq_u32_e32 vcc, s53, v22
	v_add_co_u32_e64 v25, s[6:7], 2, v23
	v_add_co_u32_e64 v37, s[6:7], 1, v23
	v_cndmask_b32_e32 v21, v26, v21, vcc
	v_cmp_ne_u32_e32 vcc, 0, v24
	v_cndmask_b32_e32 v22, v37, v25, vcc
	v_cmp_ne_u32_e32 vcc, 0, v21
	v_cndmask_b32_e32 v21, v23, v22, vcc
	v_xor_b32_e32 v21, v21, v2
	v_sub_co_u32_e32 v21, vcc, v21, v2
.LBB10_73:                              ;   in Loop: Header=BB10_71 Depth=5
	s_or_saveexec_b64 s[6:7], s[48:49]
	v_cvt_f32_u32_e32 v37, s66
	s_xor_b64 exec, exec, s[6:7]
	s_cbranch_execz .LBB10_75
; %bb.74:                               ;   in Loop: Header=BB10_71 Depth=5
	v_rcp_iflag_f32_e32 v2, v37
	s_sub_i32 s27, 0, s66
	v_mul_f32_e32 v2, 0x4f7ffffe, v2
	v_cvt_u32_f32_e32 v2, v2
	v_mul_lo_u32 v21, s27, v2
	v_mul_hi_u32 v21, v2, v21
	v_add_u32_e32 v2, v2, v21
	v_mul_hi_u32 v2, v17, v2
	v_mul_lo_u32 v21, v2, s66
	v_add_u32_e32 v22, 1, v2
	v_sub_u32_e32 v21, v17, v21
	v_subrev_u32_e32 v23, s66, v21
	v_cmp_le_u32_e32 vcc, s66, v21
	v_cndmask_b32_e32 v21, v21, v23, vcc
	v_cndmask_b32_e32 v2, v2, v22, vcc
	v_add_u32_e32 v22, 1, v2
	v_cmp_le_u32_e32 vcc, s66, v21
	v_cndmask_b32_e32 v21, v2, v22, vcc
.LBB10_75:                              ;   in Loop: Header=BB10_71 Depth=5
	s_or_b64 exec, exec, s[6:7]
	v_or_b32_e32 v2, s61, v20
	v_cmp_ne_u64_e32 vcc, 0, v[1:2]
                                        ; implicit-def: $vgpr22_vgpr23
	s_and_saveexec_b64 s[6:7], vcc
	s_xor_b64 s[48:49], exec, s[6:7]
	s_cbranch_execz .LBB10_77
; %bb.76:                               ;   in Loop: Header=BB10_71 Depth=5
	s_ashr_i32 s50, s61, 31
	s_add_u32 s6, s66, s50
	s_mov_b32 s51, s50
	s_addc_u32 s7, s61, s50
	s_xor_b64 s[52:53], s[6:7], s[50:51]
	v_cvt_f32_u32_e32 v2, s52
	v_cvt_f32_u32_e32 v22, s53
	s_sub_u32 s27, 0, s52
	s_subb_u32 s29, 0, s53
	v_mac_f32_e32 v2, 0x4f800000, v22
	v_rcp_f32_e32 v2, v2
	v_mul_f32_e32 v2, 0x5f7ffffc, v2
	v_mul_f32_e32 v22, 0x2f800000, v2
	v_trunc_f32_e32 v22, v22
	v_mac_f32_e32 v2, 0xcf800000, v22
	v_cvt_u32_f32_e32 v22, v22
	v_cvt_u32_f32_e32 v2, v2
	v_readfirstlane_b32 s39, v22
	v_readfirstlane_b32 s6, v2
	s_mul_i32 s7, s27, s39
	s_mul_hi_u32 s67, s27, s6
	s_mul_i32 s51, s29, s6
	s_add_i32 s7, s67, s7
	s_add_i32 s7, s7, s51
	s_mul_i32 s68, s27, s6
	s_mul_i32 s67, s6, s7
	s_mul_hi_u32 s69, s6, s68
	s_mul_hi_u32 s51, s6, s7
	s_add_u32 s67, s69, s67
	s_addc_u32 s51, 0, s51
	s_mul_hi_u32 s70, s39, s68
	s_mul_i32 s68, s39, s68
	s_add_u32 s67, s67, s68
	s_mul_hi_u32 s69, s39, s7
	s_addc_u32 s51, s51, s70
	s_addc_u32 s67, s69, 0
	s_mul_i32 s7, s39, s7
	s_add_u32 s7, s51, s7
	s_addc_u32 s51, 0, s67
	s_add_u32 s67, s6, s7
	s_cselect_b64 s[6:7], -1, 0
	s_cmp_lg_u64 s[6:7], 0
	s_addc_u32 s39, s39, s51
	s_mul_i32 s6, s27, s39
	s_mul_hi_u32 s7, s27, s67
	s_add_i32 s6, s7, s6
	s_mul_i32 s29, s29, s67
	s_add_i32 s6, s6, s29
	s_mul_i32 s27, s27, s67
	s_mul_hi_u32 s29, s39, s27
	s_mul_i32 s51, s39, s27
	s_mul_i32 s69, s67, s6
	s_mul_hi_u32 s27, s67, s27
	s_mul_hi_u32 s68, s67, s6
	s_add_u32 s27, s27, s69
	s_addc_u32 s68, 0, s68
	s_add_u32 s27, s27, s51
	s_mul_hi_u32 s7, s39, s6
	s_addc_u32 s27, s68, s29
	s_addc_u32 s7, s7, 0
	s_mul_i32 s6, s39, s6
	s_add_u32 s6, s27, s6
	s_addc_u32 s27, 0, s7
	s_add_u32 s29, s67, s6
	s_cselect_b64 s[6:7], -1, 0
	v_ashrrev_i32_e32 v2, 31, v20
	s_cmp_lg_u64 s[6:7], 0
	v_add_co_u32_e32 v22, vcc, v19, v2
	s_addc_u32 s27, s39, s27
	v_xor_b32_e32 v26, v22, v2
	v_mad_u64_u32 v[22:23], s[6:7], v26, s27, 0
	v_mul_hi_u32 v24, v26, s29
	v_addc_co_u32_e32 v25, vcc, v20, v2, vcc
	v_xor_b32_e32 v38, v25, v2
	v_add_co_u32_e32 v39, vcc, v24, v22
	v_addc_co_u32_e32 v40, vcc, 0, v23, vcc
	v_mad_u64_u32 v[22:23], s[6:7], v38, s29, 0
	v_mad_u64_u32 v[24:25], s[6:7], v38, s27, 0
	v_add_co_u32_e32 v22, vcc, v39, v22
	v_addc_co_u32_e32 v22, vcc, v40, v23, vcc
	v_addc_co_u32_e32 v23, vcc, 0, v25, vcc
	v_add_co_u32_e32 v24, vcc, v22, v24
	v_addc_co_u32_e32 v25, vcc, 0, v23, vcc
	v_mul_lo_u32 v39, s53, v24
	v_mul_lo_u32 v40, s52, v25
	v_mad_u64_u32 v[22:23], s[6:7], s52, v24, 0
	v_xor_b32_e32 v2, s50, v2
	v_add3_u32 v23, v23, v40, v39
	v_sub_u32_e32 v39, v38, v23
	v_mov_b32_e32 v40, s53
	v_sub_co_u32_e32 v22, vcc, v26, v22
	v_subb_co_u32_e64 v26, s[6:7], v39, v40, vcc
	v_subrev_co_u32_e64 v39, s[6:7], s52, v22
	v_subbrev_co_u32_e64 v26, s[6:7], 0, v26, s[6:7]
	v_cmp_le_u32_e64 s[6:7], s53, v26
	v_cndmask_b32_e64 v40, 0, -1, s[6:7]
	v_cmp_le_u32_e64 s[6:7], s52, v39
	v_cndmask_b32_e64 v39, 0, -1, s[6:7]
	v_cmp_eq_u32_e64 s[6:7], s53, v26
	v_cndmask_b32_e64 v26, v40, v39, s[6:7]
	v_add_co_u32_e64 v39, s[6:7], 2, v24
	v_subb_co_u32_e32 v23, vcc, v38, v23, vcc
	v_addc_co_u32_e64 v40, s[6:7], 0, v25, s[6:7]
	v_cmp_le_u32_e32 vcc, s53, v23
	v_add_co_u32_e64 v41, s[6:7], 1, v24
	v_cndmask_b32_e64 v38, 0, -1, vcc
	v_cmp_le_u32_e32 vcc, s52, v22
	v_addc_co_u32_e64 v42, s[6:7], 0, v25, s[6:7]
	v_cndmask_b32_e64 v22, 0, -1, vcc
	v_cmp_eq_u32_e32 vcc, s53, v23
	v_cmp_ne_u32_e64 s[6:7], 0, v26
	v_cndmask_b32_e32 v22, v38, v22, vcc
	v_cndmask_b32_e64 v26, v42, v40, s[6:7]
	v_cmp_ne_u32_e32 vcc, 0, v22
	v_cndmask_b32_e64 v23, v41, v39, s[6:7]
	v_cndmask_b32_e32 v22, v25, v26, vcc
	v_cndmask_b32_e32 v23, v24, v23, vcc
	v_xor_b32_e32 v24, v22, v2
	v_xor_b32_e32 v22, v23, v2
	v_sub_co_u32_e32 v22, vcc, v22, v2
	v_subb_co_u32_e32 v23, vcc, v24, v2, vcc
.LBB10_77:                              ;   in Loop: Header=BB10_71 Depth=5
	s_andn2_saveexec_b64 s[6:7], s[48:49]
	s_cbranch_execz .LBB10_79
; %bb.78:                               ;   in Loop: Header=BB10_71 Depth=5
	v_rcp_iflag_f32_e32 v2, v37
	s_sub_i32 s27, 0, s66
	v_mul_f32_e32 v2, 0x4f7ffffe, v2
	v_cvt_u32_f32_e32 v2, v2
	v_mul_lo_u32 v22, s27, v2
	v_mul_hi_u32 v22, v2, v22
	v_add_u32_e32 v2, v2, v22
	v_mul_hi_u32 v2, v19, v2
	v_mul_lo_u32 v22, v2, s66
	v_add_u32_e32 v23, 1, v2
	v_sub_u32_e32 v22, v19, v22
	v_subrev_u32_e32 v24, s66, v22
	v_cmp_le_u32_e32 vcc, s66, v22
	v_cndmask_b32_e32 v22, v22, v24, vcc
	v_cndmask_b32_e32 v2, v2, v23, vcc
	v_add_u32_e32 v23, 1, v2
	v_cmp_le_u32_e32 vcc, s66, v22
	v_cndmask_b32_e32 v22, v2, v23, vcc
	v_mov_b32_e32 v23, v1
.LBB10_79:                              ;   in Loop: Header=BB10_71 Depth=5
	s_or_b64 exec, exec, s[6:7]
	v_mul_lo_u32 v2, v23, s66
	v_mul_lo_u32 v25, v22, s61
	v_mad_u64_u32 v[23:24], s[6:7], v22, s66, 0
	v_add3_u32 v2, v24, v25, v2
	v_sub_co_u32_e32 v23, vcc, v19, v23
	v_subb_co_u32_e32 v2, vcc, v20, v2, vcc
	v_mul_lo_u32 v2, v2, s57
	v_mul_lo_u32 v25, v23, s56
	v_mad_u64_u32 v[23:24], s[6:7], v23, s57, 0
	v_add3_u32 v24, v24, v25, v2
	v_or_b32_e32 v2, s61, v24
	v_cmp_ne_u64_e32 vcc, 0, v[1:2]
                                        ; implicit-def: $vgpr25_vgpr26
	s_and_saveexec_b64 s[6:7], vcc
	s_xor_b64 s[48:49], exec, s[6:7]
	s_cbranch_execz .LBB10_81
; %bb.80:                               ;   in Loop: Header=BB10_71 Depth=5
	s_ashr_i32 s50, s61, 31
	s_add_u32 s6, s66, s50
	s_mov_b32 s51, s50
	s_addc_u32 s7, s61, s50
	s_xor_b64 s[52:53], s[6:7], s[50:51]
	v_cvt_f32_u32_e32 v2, s52
	v_cvt_f32_u32_e32 v25, s53
	s_sub_u32 s27, 0, s52
	s_subb_u32 s29, 0, s53
	v_mac_f32_e32 v2, 0x4f800000, v25
	v_rcp_f32_e32 v2, v2
	v_mul_f32_e32 v2, 0x5f7ffffc, v2
	v_mul_f32_e32 v25, 0x2f800000, v2
	v_trunc_f32_e32 v25, v25
	v_mac_f32_e32 v2, 0xcf800000, v25
	v_cvt_u32_f32_e32 v25, v25
	v_cvt_u32_f32_e32 v2, v2
	v_readfirstlane_b32 s39, v25
	v_readfirstlane_b32 s6, v2
	s_mul_i32 s7, s27, s39
	s_mul_hi_u32 s67, s27, s6
	s_mul_i32 s51, s29, s6
	s_add_i32 s7, s67, s7
	s_add_i32 s7, s7, s51
	s_mul_i32 s68, s27, s6
	s_mul_i32 s67, s6, s7
	s_mul_hi_u32 s69, s6, s68
	s_mul_hi_u32 s51, s6, s7
	s_add_u32 s67, s69, s67
	s_addc_u32 s51, 0, s51
	s_mul_hi_u32 s70, s39, s68
	s_mul_i32 s68, s39, s68
	s_add_u32 s67, s67, s68
	s_mul_hi_u32 s69, s39, s7
	s_addc_u32 s51, s51, s70
	s_addc_u32 s67, s69, 0
	s_mul_i32 s7, s39, s7
	s_add_u32 s7, s51, s7
	s_addc_u32 s51, 0, s67
	s_add_u32 s67, s6, s7
	s_cselect_b64 s[6:7], -1, 0
	s_cmp_lg_u64 s[6:7], 0
	s_addc_u32 s39, s39, s51
	s_mul_i32 s6, s27, s39
	s_mul_hi_u32 s7, s27, s67
	s_add_i32 s6, s7, s6
	s_mul_i32 s29, s29, s67
	s_add_i32 s6, s6, s29
	s_mul_i32 s27, s27, s67
	s_mul_hi_u32 s29, s39, s27
	s_mul_i32 s51, s39, s27
	s_mul_i32 s69, s67, s6
	s_mul_hi_u32 s27, s67, s27
	s_mul_hi_u32 s68, s67, s6
	s_add_u32 s27, s27, s69
	s_addc_u32 s68, 0, s68
	s_add_u32 s27, s27, s51
	s_mul_hi_u32 s7, s39, s6
	s_addc_u32 s27, s68, s29
	s_addc_u32 s7, s7, 0
	s_mul_i32 s6, s39, s6
	s_add_u32 s6, s27, s6
	s_addc_u32 s27, 0, s7
	s_add_u32 s29, s67, s6
	s_cselect_b64 s[6:7], -1, 0
	v_ashrrev_i32_e32 v2, 31, v24
	s_cmp_lg_u64 s[6:7], 0
	v_add_co_u32_e32 v23, vcc, v23, v2
	s_addc_u32 s27, s39, s27
	v_xor_b32_e32 v37, v23, v2
	v_addc_co_u32_e32 v25, vcc, v24, v2, vcc
	v_mad_u64_u32 v[23:24], s[6:7], v37, s27, 0
	v_mul_hi_u32 v26, v37, s29
	v_xor_b32_e32 v38, v25, v2
	v_xor_b32_e32 v2, s50, v2
	v_add_co_u32_e32 v39, vcc, v26, v23
	v_addc_co_u32_e32 v40, vcc, 0, v24, vcc
	v_mad_u64_u32 v[23:24], s[6:7], v38, s29, 0
	v_mad_u64_u32 v[25:26], s[6:7], v38, s27, 0
	v_add_co_u32_e32 v23, vcc, v39, v23
	v_addc_co_u32_e32 v23, vcc, v40, v24, vcc
	v_addc_co_u32_e32 v24, vcc, 0, v26, vcc
	v_add_co_u32_e32 v25, vcc, v23, v25
	v_addc_co_u32_e32 v23, vcc, 0, v24, vcc
	v_mul_lo_u32 v26, s53, v25
	v_mul_lo_u32 v39, s52, v23
	v_mad_u64_u32 v[23:24], s[6:7], s52, v25, 0
	v_add3_u32 v24, v24, v39, v26
	v_sub_u32_e32 v26, v38, v24
	v_mov_b32_e32 v39, s53
	v_sub_co_u32_e32 v23, vcc, v37, v23
	v_subb_co_u32_e64 v26, s[6:7], v26, v39, vcc
	v_subrev_co_u32_e64 v37, s[6:7], s52, v23
	v_subbrev_co_u32_e64 v26, s[6:7], 0, v26, s[6:7]
	v_cmp_le_u32_e64 s[6:7], s53, v26
	v_subb_co_u32_e32 v24, vcc, v38, v24, vcc
	v_cndmask_b32_e64 v39, 0, -1, s[6:7]
	v_cmp_le_u32_e64 s[6:7], s52, v37
	v_cmp_le_u32_e32 vcc, s53, v24
	v_cndmask_b32_e64 v37, 0, -1, s[6:7]
	v_cmp_eq_u32_e64 s[6:7], s53, v26
	v_cndmask_b32_e64 v38, 0, -1, vcc
	v_cmp_le_u32_e32 vcc, s52, v23
	v_cndmask_b32_e64 v26, v39, v37, s[6:7]
	v_cndmask_b32_e64 v23, 0, -1, vcc
	v_cmp_eq_u32_e32 vcc, s53, v24
	v_add_co_u32_e64 v37, s[6:7], 2, v25
	v_add_co_u32_e64 v39, s[6:7], 1, v25
	v_cndmask_b32_e32 v23, v38, v23, vcc
	v_cmp_ne_u32_e32 vcc, 0, v26
	v_cndmask_b32_e32 v24, v39, v37, vcc
	v_cmp_ne_u32_e32 vcc, 0, v23
	v_cndmask_b32_e32 v23, v25, v24, vcc
	v_xor_b32_e32 v23, v23, v2
	v_sub_co_u32_e32 v25, vcc, v23, v2
                                        ; implicit-def: $vgpr37
                                        ; implicit-def: $vgpr23_vgpr24
.LBB10_81:                              ;   in Loop: Header=BB10_71 Depth=5
	s_andn2_saveexec_b64 s[6:7], s[48:49]
	s_cbranch_execz .LBB10_70
; %bb.82:                               ;   in Loop: Header=BB10_71 Depth=5
	v_rcp_iflag_f32_e32 v2, v37
	s_sub_i32 s27, 0, s66
	v_mul_f32_e32 v2, 0x4f7ffffe, v2
	v_cvt_u32_f32_e32 v2, v2
	v_mul_lo_u32 v24, s27, v2
	v_mul_hi_u32 v24, v2, v24
	v_add_u32_e32 v2, v2, v24
	v_mul_hi_u32 v2, v23, v2
	v_mul_lo_u32 v24, v2, s66
	v_add_u32_e32 v25, 1, v2
	v_sub_u32_e32 v23, v23, v24
	v_subrev_u32_e32 v24, s66, v23
	v_cmp_le_u32_e32 vcc, s66, v23
	v_cndmask_b32_e32 v23, v23, v24, vcc
	v_cndmask_b32_e32 v2, v2, v25, vcc
	v_add_u32_e32 v24, 1, v2
	v_cmp_le_u32_e32 vcc, s66, v23
	v_cndmask_b32_e32 v25, v2, v24, vcc
	s_branch .LBB10_70
.LBB10_83:                              ;   in Loop: Header=BB10_42 Depth=3
                                        ; implicit-def: $sgpr6_sgpr7
	s_branch .LBB10_49
.LBB10_84:                              ;   in Loop: Header=BB10_42 Depth=3
                                        ; implicit-def: $sgpr42_sgpr43
	v_mov_b32_e32 v14, s42
	v_mov_b32_e32 v15, s43
	s_branch .LBB10_52
.LBB10_85:
	s_endpgm
.LBB10_86:
                                        ; implicit-def: $sgpr20_sgpr21
	v_cvt_f32_u32_e32 v2, s14
	s_branch .LBB10_2
.LBB10_87:
                                        ; implicit-def: $sgpr0_sgpr1
	s_branch .LBB10_5
.LBB10_88:
                                        ; implicit-def: $sgpr24_sgpr25
	s_load_dword s21, s[4:5], 0x3c
	s_andn2_b64 vcc, exec, s[22:23]
	s_cbranch_vccz .LBB10_8
	s_branch .LBB10_9
	.section	.rodata,"a",@progbits
	.p2align	6, 0x0
	.amdhsa_kernel _ZN2at6native12_GLOBAL__N_124adaptiveaveragegradinputIN3c104HalfEfEEvPT_PKS5_iiiiiil
		.amdhsa_group_segment_fixed_size 0
		.amdhsa_private_segment_fixed_size 0
		.amdhsa_kernarg_size 304
		.amdhsa_user_sgpr_count 6
		.amdhsa_user_sgpr_private_segment_buffer 1
		.amdhsa_user_sgpr_dispatch_ptr 0
		.amdhsa_user_sgpr_queue_ptr 0
		.amdhsa_user_sgpr_kernarg_segment_ptr 1
		.amdhsa_user_sgpr_dispatch_id 0
		.amdhsa_user_sgpr_flat_scratch_init 0
		.amdhsa_user_sgpr_private_segment_size 0
		.amdhsa_uses_dynamic_stack 0
		.amdhsa_system_sgpr_private_segment_wavefront_offset 0
		.amdhsa_system_sgpr_workgroup_id_x 1
		.amdhsa_system_sgpr_workgroup_id_y 1
		.amdhsa_system_sgpr_workgroup_id_z 0
		.amdhsa_system_sgpr_workgroup_info 0
		.amdhsa_system_vgpr_workitem_id 1
		.amdhsa_next_free_vgpr 43
		.amdhsa_next_free_sgpr 71
		.amdhsa_reserve_vcc 1
		.amdhsa_reserve_flat_scratch 0
		.amdhsa_float_round_mode_32 0
		.amdhsa_float_round_mode_16_64 0
		.amdhsa_float_denorm_mode_32 3
		.amdhsa_float_denorm_mode_16_64 3
		.amdhsa_dx10_clamp 1
		.amdhsa_ieee_mode 1
		.amdhsa_fp16_overflow 0
		.amdhsa_exception_fp_ieee_invalid_op 0
		.amdhsa_exception_fp_denorm_src 0
		.amdhsa_exception_fp_ieee_div_zero 0
		.amdhsa_exception_fp_ieee_overflow 0
		.amdhsa_exception_fp_ieee_underflow 0
		.amdhsa_exception_fp_ieee_inexact 0
		.amdhsa_exception_int_div_zero 0
	.end_amdhsa_kernel
	.section	.text._ZN2at6native12_GLOBAL__N_124adaptiveaveragegradinputIN3c104HalfEfEEvPT_PKS5_iiiiiil,"axG",@progbits,_ZN2at6native12_GLOBAL__N_124adaptiveaveragegradinputIN3c104HalfEfEEvPT_PKS5_iiiiiil,comdat
.Lfunc_end10:
	.size	_ZN2at6native12_GLOBAL__N_124adaptiveaveragegradinputIN3c104HalfEfEEvPT_PKS5_iiiiiil, .Lfunc_end10-_ZN2at6native12_GLOBAL__N_124adaptiveaveragegradinputIN3c104HalfEfEEvPT_PKS5_iiiiiil
                                        ; -- End function
	.set _ZN2at6native12_GLOBAL__N_124adaptiveaveragegradinputIN3c104HalfEfEEvPT_PKS5_iiiiiil.num_vgpr, 43
	.set _ZN2at6native12_GLOBAL__N_124adaptiveaveragegradinputIN3c104HalfEfEEvPT_PKS5_iiiiiil.num_agpr, 0
	.set _ZN2at6native12_GLOBAL__N_124adaptiveaveragegradinputIN3c104HalfEfEEvPT_PKS5_iiiiiil.numbered_sgpr, 71
	.set _ZN2at6native12_GLOBAL__N_124adaptiveaveragegradinputIN3c104HalfEfEEvPT_PKS5_iiiiiil.num_named_barrier, 0
	.set _ZN2at6native12_GLOBAL__N_124adaptiveaveragegradinputIN3c104HalfEfEEvPT_PKS5_iiiiiil.private_seg_size, 0
	.set _ZN2at6native12_GLOBAL__N_124adaptiveaveragegradinputIN3c104HalfEfEEvPT_PKS5_iiiiiil.uses_vcc, 1
	.set _ZN2at6native12_GLOBAL__N_124adaptiveaveragegradinputIN3c104HalfEfEEvPT_PKS5_iiiiiil.uses_flat_scratch, 0
	.set _ZN2at6native12_GLOBAL__N_124adaptiveaveragegradinputIN3c104HalfEfEEvPT_PKS5_iiiiiil.has_dyn_sized_stack, 0
	.set _ZN2at6native12_GLOBAL__N_124adaptiveaveragegradinputIN3c104HalfEfEEvPT_PKS5_iiiiiil.has_recursion, 0
	.set _ZN2at6native12_GLOBAL__N_124adaptiveaveragegradinputIN3c104HalfEfEEvPT_PKS5_iiiiiil.has_indirect_call, 0
	.section	.AMDGPU.csdata,"",@progbits
; Kernel info:
; codeLenInByte = 13416
; TotalNumSgprs: 75
; NumVgprs: 43
; ScratchSize: 0
; MemoryBound: 0
; FloatMode: 240
; IeeeMode: 1
; LDSByteSize: 0 bytes/workgroup (compile time only)
; SGPRBlocks: 9
; VGPRBlocks: 10
; NumSGPRsForWavesPerEU: 75
; NumVGPRsForWavesPerEU: 43
; Occupancy: 5
; WaveLimiterHint : 0
; COMPUTE_PGM_RSRC2:SCRATCH_EN: 0
; COMPUTE_PGM_RSRC2:USER_SGPR: 6
; COMPUTE_PGM_RSRC2:TRAP_HANDLER: 0
; COMPUTE_PGM_RSRC2:TGID_X_EN: 1
; COMPUTE_PGM_RSRC2:TGID_Y_EN: 1
; COMPUTE_PGM_RSRC2:TGID_Z_EN: 0
; COMPUTE_PGM_RSRC2:TIDIG_COMP_CNT: 1
	.section	.text._ZN2at6native12_GLOBAL__N_124adaptiveaveragegradinputIN3c108BFloat16EfEEvPT_PKS5_iiiiiil,"axG",@progbits,_ZN2at6native12_GLOBAL__N_124adaptiveaveragegradinputIN3c108BFloat16EfEEvPT_PKS5_iiiiiil,comdat
	.globl	_ZN2at6native12_GLOBAL__N_124adaptiveaveragegradinputIN3c108BFloat16EfEEvPT_PKS5_iiiiiil ; -- Begin function _ZN2at6native12_GLOBAL__N_124adaptiveaveragegradinputIN3c108BFloat16EfEEvPT_PKS5_iiiiiil
	.p2align	8
	.type	_ZN2at6native12_GLOBAL__N_124adaptiveaveragegradinputIN3c108BFloat16EfEEvPT_PKS5_iiiiiil,@function
_ZN2at6native12_GLOBAL__N_124adaptiveaveragegradinputIN3c108BFloat16EfEEvPT_PKS5_iiiiiil: ; @_ZN2at6native12_GLOBAL__N_124adaptiveaveragegradinputIN3c108BFloat16EfEEvPT_PKS5_iiiiiil
; %bb.0:
	s_load_dwordx8 s[8:15], s[4:5], 0x10
	s_mov_b32 s0, 0
	s_waitcnt lgkmcnt(0)
	s_add_u32 s18, s14, s6
	s_addc_u32 s19, s15, 0
	s_ashr_i32 s15, s8, 31
	s_mov_b32 s14, s8
	s_or_b64 s[2:3], s[18:19], s[14:15]
	s_mov_b32 s1, s3
	s_cmp_lg_u64 s[0:1], 0
	s_cbranch_scc0 .LBB11_86
; %bb.1:
	s_ashr_i32 s2, s15, 31
	s_add_u32 s0, s14, s2
	s_mov_b32 s3, s2
	s_addc_u32 s1, s15, s2
	s_xor_b64 s[16:17], s[0:1], s[2:3]
	v_cvt_f32_u32_e32 v2, s16
	v_cvt_f32_u32_e32 v3, s17
	s_sub_u32 s6, 0, s16
	s_subb_u32 s8, 0, s17
	v_madmk_f32 v2, v3, 0x4f800000, v2
	v_rcp_f32_e32 v2, v2
	v_mul_f32_e32 v2, 0x5f7ffffc, v2
	v_mul_f32_e32 v3, 0x2f800000, v2
	v_trunc_f32_e32 v3, v3
	v_madmk_f32 v2, v3, 0xcf800000, v2
	v_cvt_u32_f32_e32 v3, v3
	v_cvt_u32_f32_e32 v2, v2
	v_readfirstlane_b32 s22, v3
	v_readfirstlane_b32 s20, v2
	s_mul_i32 s21, s6, s22
	s_mul_hi_u32 s24, s6, s20
	s_mul_i32 s23, s8, s20
	s_add_i32 s21, s24, s21
	s_add_i32 s21, s21, s23
	s_mul_i32 s25, s6, s20
	s_mul_i32 s24, s20, s21
	s_mul_hi_u32 s26, s20, s25
	s_mul_hi_u32 s23, s20, s21
	s_add_u32 s24, s26, s24
	s_addc_u32 s23, 0, s23
	s_mul_hi_u32 s27, s22, s25
	s_mul_i32 s25, s22, s25
	s_add_u32 s24, s24, s25
	s_mul_hi_u32 s26, s22, s21
	s_addc_u32 s23, s23, s27
	s_addc_u32 s24, s26, 0
	s_mul_i32 s21, s22, s21
	s_add_u32 s21, s23, s21
	s_addc_u32 s23, 0, s24
	s_add_u32 s24, s20, s21
	s_cselect_b64 s[20:21], -1, 0
	s_cmp_lg_u64 s[20:21], 0
	s_addc_u32 s22, s22, s23
	s_mul_i32 s20, s6, s22
	s_mul_hi_u32 s21, s6, s24
	s_add_i32 s20, s21, s20
	s_mul_i32 s8, s8, s24
	s_add_i32 s20, s20, s8
	s_mul_i32 s6, s6, s24
	s_mul_hi_u32 s21, s22, s6
	s_mul_i32 s23, s22, s6
	s_mul_i32 s26, s24, s20
	s_mul_hi_u32 s6, s24, s6
	s_mul_hi_u32 s25, s24, s20
	s_add_u32 s6, s6, s26
	s_addc_u32 s25, 0, s25
	s_add_u32 s6, s6, s23
	s_mul_hi_u32 s8, s22, s20
	s_addc_u32 s6, s25, s21
	s_addc_u32 s8, s8, 0
	s_mul_i32 s20, s22, s20
	s_add_u32 s6, s6, s20
	s_addc_u32 s8, 0, s8
	s_add_u32 s6, s24, s6
	s_cselect_b64 s[20:21], -1, 0
	s_cmp_lg_u64 s[20:21], 0
	s_addc_u32 s8, s22, s8
	s_ashr_i32 s20, s19, 31
	s_add_u32 s22, s18, s20
	s_mov_b32 s21, s20
	s_addc_u32 s23, s19, s20
	s_xor_b64 s[22:23], s[22:23], s[20:21]
	s_mul_i32 s25, s22, s8
	s_mul_hi_u32 s26, s22, s6
	s_mul_hi_u32 s24, s22, s8
	s_add_u32 s25, s26, s25
	s_addc_u32 s24, 0, s24
	s_mul_hi_u32 s27, s23, s6
	s_mul_i32 s6, s23, s6
	s_add_u32 s6, s25, s6
	s_mul_hi_u32 s26, s23, s8
	s_addc_u32 s6, s24, s27
	s_addc_u32 s24, s26, 0
	s_mul_i32 s8, s23, s8
	s_add_u32 s6, s6, s8
	s_addc_u32 s8, 0, s24
	s_mul_i32 s24, s16, s8
	s_mul_hi_u32 s25, s16, s6
	s_add_i32 s24, s25, s24
	s_mul_i32 s25, s17, s6
	s_add_i32 s28, s24, s25
	s_sub_i32 s26, s23, s28
	s_mul_i32 s24, s16, s6
	s_sub_u32 s22, s22, s24
	s_cselect_b64 s[24:25], -1, 0
	s_cmp_lg_u64 s[24:25], 0
	s_subb_u32 s29, s26, s17
	s_sub_u32 s30, s22, s16
	s_cselect_b64 s[26:27], -1, 0
	s_cmp_lg_u64 s[26:27], 0
	s_subb_u32 s26, s29, 0
	s_cmp_ge_u32 s26, s17
	s_cselect_b32 s27, -1, 0
	s_cmp_ge_u32 s30, s16
	s_cselect_b32 s29, -1, 0
	s_cmp_eq_u32 s26, s17
	s_cselect_b32 s26, s29, s27
	s_add_u32 s27, s6, 1
	s_addc_u32 s29, s8, 0
	s_add_u32 s30, s6, 2
	s_addc_u32 s31, s8, 0
	s_cmp_lg_u32 s26, 0
	s_cselect_b32 s26, s30, s27
	s_cselect_b32 s27, s31, s29
	s_cmp_lg_u64 s[24:25], 0
	s_subb_u32 s23, s23, s28
	s_cmp_ge_u32 s23, s17
	s_cselect_b32 s24, -1, 0
	s_cmp_ge_u32 s22, s16
	s_cselect_b32 s16, -1, 0
	s_cmp_eq_u32 s23, s17
	s_cselect_b32 s16, s16, s24
	s_cmp_lg_u32 s16, 0
	s_cselect_b32 s17, s27, s8
	s_cselect_b32 s16, s26, s6
	s_xor_b64 s[2:3], s[20:21], s[2:3]
	s_xor_b64 s[16:17], s[16:17], s[2:3]
	s_sub_u32 s20, s16, s2
	s_subb_u32 s21, s17, s3
	v_cvt_f32_u32_e32 v2, s14
	s_cbranch_execnz .LBB11_3
.LBB11_2:
	v_rcp_iflag_f32_e32 v3, v2
	s_sub_i32 s0, 0, s14
	s_mov_b32 s21, 0
	v_mul_f32_e32 v3, 0x4f7ffffe, v3
	v_cvt_u32_f32_e32 v3, v3
	v_readfirstlane_b32 s1, v3
	s_mul_i32 s0, s0, s1
	s_mul_hi_u32 s0, s1, s0
	s_add_i32 s1, s1, s0
	s_mul_hi_u32 s0, s18, s1
	s_mul_i32 s2, s0, s14
	s_sub_i32 s2, s18, s2
	s_add_i32 s1, s0, 1
	s_sub_i32 s3, s2, s14
	s_cmp_ge_u32 s2, s14
	s_cselect_b32 s0, s1, s0
	s_cselect_b32 s2, s3, s2
	s_add_i32 s1, s0, 1
	s_cmp_ge_u32 s2, s14
	s_cselect_b32 s20, s1, s0
.LBB11_3:
	s_mul_i32 s0, s20, s15
	s_mul_hi_u32 s1, s20, s14
	s_add_i32 s0, s1, s0
	s_mul_i32 s1, s21, s14
	s_add_i32 s0, s0, s1
	s_mul_i32 s1, s20, s14
	s_sub_u32 s8, s18, s1
	s_subb_u32 s21, s19, s0
	s_abs_i32 s1, s14
	v_cvt_f32_u32_e32 v3, s1
	s_sub_i32 s6, 0, s1
	s_abs_i32 s3, s8
	s_xor_b32 s0, s8, s14
	v_rcp_iflag_f32_e32 v3, v3
	s_ashr_i32 s17, s11, 31
	s_ashr_i32 s2, s0, 31
	s_mov_b32 s0, 0
	v_mul_f32_e32 v3, 0x4f7ffffe, v3
	v_cvt_u32_f32_e32 v3, v3
	v_readfirstlane_b32 s16, v3
	s_mul_i32 s6, s6, s16
	s_mul_hi_u32 s6, s16, s6
	s_add_i32 s16, s16, s6
	s_mul_hi_u32 s6, s3, s16
	s_mul_i32 s16, s6, s1
	s_sub_i32 s3, s3, s16
	s_add_i32 s16, s6, 1
	s_sub_i32 s22, s3, s1
	s_cmp_ge_u32 s3, s1
	s_cselect_b32 s6, s16, s6
	s_cselect_b32 s3, s22, s3
	s_add_i32 s16, s6, 1
	s_cmp_ge_u32 s3, s1
	s_cselect_b32 s1, s16, s6
	s_xor_b32 s1, s1, s2
	s_sub_i32 s6, s1, s2
	s_mul_i32 s1, s6, s14
	s_sub_i32 s1, s8, s1
	s_mul_hi_i32 s3, s1, s11
	s_mul_i32 s2, s1, s11
	s_or_b64 s[22:23], s[2:3], s[14:15]
	s_mov_b32 s1, s23
	s_cmp_lg_u64 s[0:1], 0
	s_mov_b32 s16, s11
	s_cbranch_scc0 .LBB11_87
; %bb.4:
	s_ashr_i32 s0, s15, 31
	s_add_u32 s22, s14, s0
	s_mov_b32 s1, s0
	s_addc_u32 s23, s15, s0
	s_xor_b64 s[24:25], s[22:23], s[0:1]
	v_cvt_f32_u32_e32 v3, s24
	v_cvt_f32_u32_e32 v4, s25
	s_sub_u32 s28, 0, s24
	s_subb_u32 s29, 0, s25
	v_madmk_f32 v3, v4, 0x4f800000, v3
	v_rcp_f32_e32 v3, v3
	v_mul_f32_e32 v3, 0x5f7ffffc, v3
	v_mul_f32_e32 v4, 0x2f800000, v3
	v_trunc_f32_e32 v4, v4
	v_madmk_f32 v3, v4, 0xcf800000, v3
	v_cvt_u32_f32_e32 v4, v4
	v_cvt_u32_f32_e32 v3, v3
	v_readfirstlane_b32 s30, v4
	v_readfirstlane_b32 s26, v3
	s_mul_i32 s27, s28, s30
	s_mul_hi_u32 s33, s28, s26
	s_mul_i32 s31, s29, s26
	s_add_i32 s27, s33, s27
	s_add_i32 s27, s27, s31
	s_mul_i32 s34, s28, s26
	s_mul_i32 s33, s26, s27
	s_mul_hi_u32 s35, s26, s34
	s_mul_hi_u32 s31, s26, s27
	s_add_u32 s33, s35, s33
	s_addc_u32 s31, 0, s31
	s_mul_hi_u32 s36, s30, s34
	s_mul_i32 s34, s30, s34
	s_add_u32 s33, s33, s34
	s_mul_hi_u32 s35, s30, s27
	s_addc_u32 s31, s31, s36
	s_addc_u32 s33, s35, 0
	s_mul_i32 s27, s30, s27
	s_add_u32 s27, s31, s27
	s_addc_u32 s31, 0, s33
	s_add_u32 s33, s26, s27
	s_cselect_b64 s[26:27], -1, 0
	s_cmp_lg_u64 s[26:27], 0
	s_addc_u32 s30, s30, s31
	s_mul_i32 s26, s28, s30
	s_mul_hi_u32 s27, s28, s33
	s_add_i32 s26, s27, s26
	s_mul_i32 s29, s29, s33
	s_add_i32 s26, s26, s29
	s_mul_i32 s28, s28, s33
	s_mul_hi_u32 s29, s30, s28
	s_mul_i32 s31, s30, s28
	s_mul_i32 s35, s33, s26
	s_mul_hi_u32 s28, s33, s28
	s_mul_hi_u32 s34, s33, s26
	s_add_u32 s28, s28, s35
	s_addc_u32 s34, 0, s34
	s_add_u32 s28, s28, s31
	s_mul_hi_u32 s27, s30, s26
	s_addc_u32 s28, s34, s29
	s_addc_u32 s27, s27, 0
	s_mul_i32 s26, s30, s26
	s_add_u32 s26, s28, s26
	s_addc_u32 s28, 0, s27
	s_add_u32 s31, s33, s26
	s_cselect_b64 s[26:27], -1, 0
	s_cmp_lg_u64 s[26:27], 0
	s_addc_u32 s30, s30, s28
	s_ashr_i32 s26, s3, 31
	s_add_u32 s28, s2, s26
	s_mov_b32 s27, s26
	s_addc_u32 s29, s3, s26
	s_xor_b64 s[28:29], s[28:29], s[26:27]
	s_mul_i32 s33, s28, s30
	s_mul_hi_u32 s34, s28, s31
	s_mul_hi_u32 s3, s28, s30
	s_add_u32 s33, s34, s33
	s_addc_u32 s3, 0, s3
	s_mul_hi_u32 s35, s29, s31
	s_mul_i32 s31, s29, s31
	s_add_u32 s31, s33, s31
	s_mul_hi_u32 s34, s29, s30
	s_addc_u32 s3, s3, s35
	s_addc_u32 s31, s34, 0
	s_mul_i32 s30, s29, s30
	s_add_u32 s3, s3, s30
	s_addc_u32 s33, 0, s31
	s_mul_i32 s30, s24, s33
	s_mul_hi_u32 s31, s24, s3
	s_add_i32 s30, s31, s30
	s_mul_i32 s31, s25, s3
	s_add_i32 s36, s30, s31
	s_sub_i32 s34, s29, s36
	s_mul_i32 s30, s24, s3
	s_sub_u32 s28, s28, s30
	s_cselect_b64 s[30:31], -1, 0
	s_cmp_lg_u64 s[30:31], 0
	s_subb_u32 s37, s34, s25
	s_sub_u32 s38, s28, s24
	s_cselect_b64 s[34:35], -1, 0
	s_cmp_lg_u64 s[34:35], 0
	s_subb_u32 s34, s37, 0
	s_cmp_ge_u32 s34, s25
	s_cselect_b32 s35, -1, 0
	s_cmp_ge_u32 s38, s24
	s_cselect_b32 s37, -1, 0
	s_cmp_eq_u32 s34, s25
	s_cselect_b32 s34, s37, s35
	s_add_u32 s35, s3, 1
	s_addc_u32 s37, s33, 0
	s_add_u32 s38, s3, 2
	s_addc_u32 s39, s33, 0
	s_cmp_lg_u32 s34, 0
	s_cselect_b32 s34, s38, s35
	s_cselect_b32 s35, s39, s37
	s_cmp_lg_u64 s[30:31], 0
	s_subb_u32 s29, s29, s36
	s_cmp_ge_u32 s29, s25
	s_cselect_b32 s30, -1, 0
	s_cmp_ge_u32 s28, s24
	s_cselect_b32 s24, -1, 0
	s_cmp_eq_u32 s29, s25
	s_cselect_b32 s24, s24, s30
	s_cmp_lg_u32 s24, 0
	s_cselect_b32 s25, s35, s33
	s_cselect_b32 s24, s34, s3
	s_xor_b64 s[0:1], s[26:27], s[0:1]
	s_xor_b64 s[24:25], s[24:25], s[0:1]
	s_sub_u32 s0, s24, s0
	s_cbranch_execnz .LBB11_6
.LBB11_5:
	v_rcp_iflag_f32_e32 v3, v2
	s_sub_i32 s0, 0, s14
	v_mul_f32_e32 v3, 0x4f7ffffe, v3
	v_cvt_u32_f32_e32 v3, v3
	v_readfirstlane_b32 s1, v3
	s_mul_i32 s0, s0, s1
	s_mul_hi_u32 s0, s1, s0
	s_add_i32 s1, s1, s0
	s_mul_hi_u32 s0, s2, s1
	s_mul_i32 s3, s0, s14
	s_sub_i32 s2, s2, s3
	s_add_i32 s1, s0, 1
	s_sub_i32 s3, s2, s14
	s_cmp_ge_u32 s2, s14
	s_cselect_b32 s0, s1, s0
	s_cselect_b32 s2, s3, s2
	s_add_i32 s1, s0, 1
	s_cmp_ge_u32 s2, s14
	s_cselect_b32 s0, s1, s0
.LBB11_6:
	s_add_u32 s1, s8, 1
	s_addc_u32 s2, s21, 0
	s_mul_i32 s3, s1, s17
	s_mul_hi_u32 s8, s1, s16
	s_add_i32 s3, s8, s3
	s_mul_i32 s2, s2, s16
	s_add_i32 s3, s3, s2
	s_mul_i32 s1, s1, s16
	s_add_u32 s2, s1, -1
	s_addc_u32 s3, s3, -1
	s_or_b64 s[22:23], s[2:3], s[14:15]
	s_mov_b32 s22, 0
	s_cmp_lg_u64 s[22:23], 0
	s_mov_b64 s[22:23], -1
	s_cbranch_scc0 .LBB11_88
; %bb.7:
	s_ashr_i32 s24, s15, 31
	s_add_u32 s22, s14, s24
	s_mov_b32 s25, s24
	s_addc_u32 s23, s15, s24
	s_xor_b64 s[26:27], s[22:23], s[24:25]
	v_cvt_f32_u32_e32 v3, s26
	v_cvt_f32_u32_e32 v4, s27
	s_sub_u32 s1, 0, s26
	s_subb_u32 s8, 0, s27
	v_madmk_f32 v3, v4, 0x4f800000, v3
	v_rcp_f32_e32 v3, v3
	v_mul_f32_e32 v3, 0x5f7ffffc, v3
	v_mul_f32_e32 v4, 0x2f800000, v3
	v_trunc_f32_e32 v4, v4
	v_madmk_f32 v3, v4, 0xcf800000, v3
	v_cvt_u32_f32_e32 v4, v4
	v_cvt_u32_f32_e32 v3, v3
	v_readfirstlane_b32 s21, v4
	v_readfirstlane_b32 s28, v3
	s_mul_i32 s29, s1, s21
	s_mul_hi_u32 s31, s1, s28
	s_mul_i32 s30, s8, s28
	s_add_i32 s29, s31, s29
	s_add_i32 s29, s29, s30
	s_mul_i32 s33, s1, s28
	s_mul_i32 s31, s28, s29
	s_mul_hi_u32 s34, s28, s33
	s_mul_hi_u32 s30, s28, s29
	s_add_u32 s31, s34, s31
	s_addc_u32 s30, 0, s30
	s_mul_hi_u32 s35, s21, s33
	s_mul_i32 s33, s21, s33
	s_add_u32 s31, s31, s33
	s_mul_hi_u32 s34, s21, s29
	s_addc_u32 s30, s30, s35
	s_addc_u32 s31, s34, 0
	s_mul_i32 s29, s21, s29
	s_add_u32 s29, s30, s29
	s_addc_u32 s30, 0, s31
	s_add_u32 s31, s28, s29
	s_cselect_b64 s[28:29], -1, 0
	s_cmp_lg_u64 s[28:29], 0
	s_addc_u32 s21, s21, s30
	s_mul_i32 s28, s1, s21
	s_mul_hi_u32 s29, s1, s31
	s_add_i32 s28, s29, s28
	s_mul_i32 s8, s8, s31
	s_add_i32 s28, s28, s8
	s_mul_i32 s1, s1, s31
	s_mul_hi_u32 s29, s21, s1
	s_mul_i32 s30, s21, s1
	s_mul_i32 s34, s31, s28
	s_mul_hi_u32 s1, s31, s1
	s_mul_hi_u32 s33, s31, s28
	s_add_u32 s1, s1, s34
	s_addc_u32 s33, 0, s33
	s_add_u32 s1, s1, s30
	s_mul_hi_u32 s8, s21, s28
	s_addc_u32 s1, s33, s29
	s_addc_u32 s8, s8, 0
	s_mul_i32 s28, s21, s28
	s_add_u32 s1, s1, s28
	s_addc_u32 s8, 0, s8
	s_add_u32 s1, s31, s1
	s_cselect_b64 s[28:29], -1, 0
	s_cmp_lg_u64 s[28:29], 0
	s_addc_u32 s8, s21, s8
	s_ashr_i32 s28, s3, 31
	s_add_u32 s30, s2, s28
	s_mov_b32 s29, s28
	s_addc_u32 s31, s3, s28
	s_xor_b64 s[30:31], s[30:31], s[28:29]
	s_mul_i32 s21, s30, s8
	s_mul_hi_u32 s33, s30, s1
	s_mul_hi_u32 s3, s30, s8
	s_add_u32 s21, s33, s21
	s_addc_u32 s3, 0, s3
	s_mul_hi_u32 s34, s31, s1
	s_mul_i32 s1, s31, s1
	s_add_u32 s1, s21, s1
	s_mul_hi_u32 s33, s31, s8
	s_addc_u32 s1, s3, s34
	s_addc_u32 s3, s33, 0
	s_mul_i32 s8, s31, s8
	s_add_u32 s1, s1, s8
	s_addc_u32 s3, 0, s3
	s_mul_i32 s8, s26, s3
	s_mul_hi_u32 s21, s26, s1
	s_add_i32 s8, s21, s8
	s_mul_i32 s21, s27, s1
	s_add_i32 s8, s8, s21
	s_sub_i32 s21, s31, s8
	s_mul_i32 s33, s26, s1
	s_sub_u32 s30, s30, s33
	s_cselect_b64 s[34:35], -1, 0
	s_cmp_lg_u64 s[34:35], 0
	s_subb_u32 s21, s21, s27
	s_sub_u32 s33, s30, s26
	s_cselect_b64 s[36:37], -1, 0
	s_cmp_lg_u64 s[36:37], 0
	s_subb_u32 s21, s21, 0
	s_cmp_ge_u32 s21, s27
	s_cselect_b32 s36, -1, 0
	s_cmp_ge_u32 s33, s26
	s_cselect_b32 s33, -1, 0
	s_cmp_eq_u32 s21, s27
	s_cselect_b32 s21, s33, s36
	s_add_u32 s33, s1, 1
	s_addc_u32 s36, s3, 0
	s_add_u32 s37, s1, 2
	s_addc_u32 s38, s3, 0
	s_cmp_lg_u32 s21, 0
	s_cselect_b32 s21, s37, s33
	s_cselect_b32 s33, s38, s36
	s_cmp_lg_u64 s[34:35], 0
	s_subb_u32 s8, s31, s8
	s_cmp_ge_u32 s8, s27
	s_cselect_b32 s31, -1, 0
	s_cmp_ge_u32 s30, s26
	s_cselect_b32 s26, -1, 0
	s_cmp_eq_u32 s8, s27
	s_cselect_b32 s8, s26, s31
	s_cmp_lg_u32 s8, 0
	s_cselect_b32 s27, s33, s3
	s_cselect_b32 s26, s21, s1
	s_xor_b64 s[24:25], s[28:29], s[24:25]
	s_xor_b64 s[26:27], s[26:27], s[24:25]
	s_sub_u32 s24, s26, s24
	s_load_dword s21, s[4:5], 0x3c
	s_cbranch_execnz .LBB11_9
.LBB11_8:
	v_rcp_iflag_f32_e32 v2, v2
	s_sub_i32 s1, 0, s14
	v_mul_f32_e32 v2, 0x4f7ffffe, v2
	v_cvt_u32_f32_e32 v2, v2
	v_readfirstlane_b32 s3, v2
	s_mul_i32 s1, s1, s3
	s_mul_hi_u32 s1, s3, s1
	s_add_i32 s3, s3, s1
	s_mul_hi_u32 s1, s2, s3
	s_mul_i32 s8, s1, s14
	s_sub_i32 s2, s2, s8
	s_add_i32 s3, s1, 1
	s_sub_i32 s8, s2, s14
	s_cmp_ge_u32 s2, s14
	s_cselect_b32 s1, s3, s1
	s_cselect_b32 s2, s8, s2
	s_add_i32 s3, s1, 1
	s_cmp_ge_u32 s2, s14
	s_cselect_b32 s24, s3, s1
.LBB11_9:
	s_waitcnt lgkmcnt(0)
	s_lshr_b32 s22, s21, 16
	s_mul_i32 s7, s7, s22
	v_add_u32_e32 v27, s7, v1
	v_cmp_gt_i32_e32 vcc, s9, v27
	s_and_saveexec_b64 s[2:3], vcc
	s_cbranch_execz .LBB11_85
; %bb.10:
	s_mul_i32 s6, s6, s16
	s_add_i32 s8, s0, s6
	s_load_dword s64, s[4:5], 0x34
	s_load_dwordx4 s[0:3], s[4:5], 0x0
	s_mul_i32 s6, s10, s9
	s_mul_hi_i32 s4, s10, s9
	s_mul_i32 s5, s6, s19
	s_mul_hi_u32 s7, s6, s18
	s_add_i32 s5, s7, s5
	s_mul_i32 s4, s4, s18
	s_add_i32 s5, s5, s4
	s_mul_i32 s4, s6, s18
	s_add_i32 s33, s24, 1
	s_ashr_i32 s54, s9, 31
	s_ashr_i32 s56, s10, 31
	s_lshl_b64 s[4:5], s[4:5], 1
	s_waitcnt lgkmcnt(0)
	s_add_u32 s58, s0, s4
	s_mul_i32 s0, s11, s20
	s_addc_u32 s59, s1, s5
	s_add_i32 s0, s0, s8
	s_mul_i32 s4, s13, s12
	s_and_b32 s11, s21, 0xffff
	s_ashr_i32 s60, s12, 31
	s_ashr_i32 s61, s13, 31
	s_mul_i32 s0, s4, s0
	s_cmp_gt_i32 s33, s8
	s_cselect_b64 s[18:19], -1, 0
	s_ashr_i32 s1, s0, 31
	s_ashr_i32 s5, s4, 31
	s_lshl_b64 s[0:1], s[0:1], 1
	s_add_u32 s20, s2, s0
	s_addc_u32 s21, s3, s1
	s_ashr_i32 s62, s9, 31
	s_add_i32 s0, s9, s62
	s_xor_b32 s63, s0, s62
	s_mov_b32 s55, s9
	v_cvt_f32_u32_e32 v1, s63
	v_cvt_f32_u32_e32 v2, s55
	s_sub_i32 s2, 0, s63
	s_mov_b32 s57, s10
	v_rcp_iflag_f32_e32 v1, v1
	v_rcp_iflag_f32_e32 v2, v2
	s_mul_i32 s64, s64, s22
	s_mov_b32 s65, s12
	v_mul_f32_e32 v1, 0x4f7ffffe, v1
	v_cvt_u32_f32_e32 v3, v1
	v_mul_f32_e32 v1, 0x4f7ffffe, v2
	v_cvt_u32_f32_e32 v2, v1
	v_cmp_gt_i32_e64 s[0:1], s10, v0
	v_mul_lo_u32 v1, s2, v3
	s_sub_i32 s2, 0, s9
	v_mul_lo_u32 v4, s2, v2
	s_mov_b32 s66, s13
	v_mul_hi_u32 v5, v3, v1
	s_lshl_b64 s[22:23], s[4:5], 1
	v_mul_hi_u32 v4, v2, v4
	s_mov_b64 s[24:25], 0
	v_mov_b32_e32 v1, 0
	s_mov_b32 s26, 0
	v_add_u32_e32 v28, v3, v5
	v_add_u32_e32 v29, v2, v4
	s_movk_i32 s67, 0x7fff
	s_ashr_i32 s28, s54, 31
	v_mov_b32_e32 v30, 0x7fc00000
	v_mov_b32_e32 v31, 0x7fc0
	s_branch .LBB11_12
.LBB11_11:                              ;   in Loop: Header=BB11_12 Depth=1
	s_or_b64 exec, exec, s[30:31]
	v_add_u32_e32 v27, s64, v27
	v_cmp_le_i32_e32 vcc, s9, v27
	s_or_b64 s[24:25], vcc, s[24:25]
	s_andn2_b64 exec, exec, s[24:25]
	s_cbranch_execz .LBB11_85
.LBB11_12:                              ; =>This Loop Header: Depth=1
                                        ;     Child Loop BB11_27 Depth 2
                                        ;       Child Loop BB11_42 Depth 3
                                        ;         Child Loop BB11_56 Depth 4
                                        ;           Child Loop BB11_71 Depth 5
	v_ashrrev_i32_e32 v8, 31, v27
	v_or_b32_e32 v2, s54, v8
	v_cmp_ne_u64_e32 vcc, 0, v[1:2]
                                        ; implicit-def: $vgpr5_vgpr6
	s_and_saveexec_b64 s[2:3], vcc
	s_xor_b64 s[2:3], exec, s[2:3]
	s_cbranch_execz .LBB11_14
; %bb.13:                               ;   in Loop: Header=BB11_12 Depth=1
	v_ashrrev_i32_e32 v2, 31, v27
	v_add_u32_e32 v3, v27, v2
	v_xor_b32_e32 v3, v3, v2
	v_mul_hi_u32 v4, v3, v28
	v_xor_b32_e32 v2, s62, v2
	v_mul_lo_u32 v5, v4, s63
	v_add_u32_e32 v6, 1, v4
	v_sub_u32_e32 v3, v3, v5
	v_subrev_u32_e32 v5, s63, v3
	v_cmp_le_u32_e32 vcc, s63, v3
	v_cndmask_b32_e32 v3, v3, v5, vcc
	v_cndmask_b32_e32 v4, v4, v6, vcc
	v_add_u32_e32 v5, 1, v4
	v_cmp_le_u32_e32 vcc, s63, v3
	v_cndmask_b32_e32 v3, v4, v5, vcc
	v_xor_b32_e32 v3, v3, v2
	v_sub_u32_e32 v5, v3, v2
	v_ashrrev_i32_e32 v6, 31, v5
.LBB11_14:                              ;   in Loop: Header=BB11_12 Depth=1
	s_andn2_saveexec_b64 s[2:3], s[2:3]
	s_cbranch_execz .LBB11_16
; %bb.15:                               ;   in Loop: Header=BB11_12 Depth=1
	v_mul_hi_u32 v2, v27, v29
	v_mov_b32_e32 v6, v1
	v_mul_lo_u32 v3, v2, s55
	v_add_u32_e32 v4, 1, v2
	v_sub_u32_e32 v3, v27, v3
	v_subrev_u32_e32 v5, s55, v3
	v_cmp_le_u32_e32 vcc, s55, v3
	v_cndmask_b32_e32 v3, v3, v5, vcc
	v_cndmask_b32_e32 v2, v2, v4, vcc
	v_add_u32_e32 v4, 1, v2
	v_cmp_le_u32_e32 vcc, s55, v3
	v_cndmask_b32_e32 v5, v2, v4, vcc
.LBB11_16:                              ;   in Loop: Header=BB11_12 Depth=1
	s_or_b64 exec, exec, s[2:3]
	v_mul_lo_u32 v4, v6, s55
	v_mul_lo_u32 v6, v5, s54
	v_mad_u64_u32 v[2:3], s[2:3], v5, s55, 0
	v_add3_u32 v3, v3, v6, v4
	v_sub_co_u32_e32 v2, vcc, v27, v2
	v_subb_co_u32_e32 v3, vcc, v8, v3, vcc
	v_mul_lo_u32 v6, v3, s65
	v_mul_lo_u32 v7, v2, s60
	v_mad_u64_u32 v[3:4], s[2:3], v2, s65, 0
	v_add3_u32 v4, v4, v7, v6
	v_or_b32_e32 v2, s54, v4
	v_cmp_ne_u64_e32 vcc, 0, v[1:2]
                                        ; implicit-def: $vgpr6_vgpr7
	s_and_saveexec_b64 s[2:3], vcc
	s_xor_b64 s[4:5], exec, s[2:3]
	s_cbranch_execz .LBB11_18
; %bb.17:                               ;   in Loop: Header=BB11_12 Depth=1
	s_add_u32 s2, s55, s28
	s_mov_b32 s29, s28
	s_addc_u32 s3, s54, s28
	s_xor_b64 s[6:7], s[2:3], s[28:29]
	v_cvt_f32_u32_e32 v2, s6
	v_cvt_f32_u32_e32 v6, s7
	s_sub_u32 s27, 0, s6
	s_subb_u32 s29, 0, s7
	v_ashrrev_i32_e32 v9, 31, v4
	v_mac_f32_e32 v2, 0x4f800000, v6
	v_rcp_f32_e32 v2, v2
	v_mul_f32_e32 v2, 0x5f7ffffc, v2
	v_mul_f32_e32 v6, 0x2f800000, v2
	v_trunc_f32_e32 v6, v6
	v_mac_f32_e32 v2, 0xcf800000, v6
	v_cvt_u32_f32_e32 v6, v6
	v_cvt_u32_f32_e32 v2, v2
	v_readfirstlane_b32 s30, v6
	v_readfirstlane_b32 s2, v2
	s_mul_i32 s3, s27, s30
	s_mul_hi_u32 s34, s27, s2
	s_mul_i32 s31, s29, s2
	s_add_i32 s3, s34, s3
	s_add_i32 s3, s3, s31
	s_mul_i32 s35, s27, s2
	s_mul_i32 s34, s2, s3
	s_mul_hi_u32 s36, s2, s35
	s_mul_hi_u32 s31, s2, s3
	s_add_u32 s34, s36, s34
	s_addc_u32 s31, 0, s31
	s_mul_hi_u32 s37, s30, s35
	s_mul_i32 s35, s30, s35
	s_add_u32 s34, s34, s35
	s_mul_hi_u32 s36, s30, s3
	s_addc_u32 s31, s31, s37
	s_addc_u32 s34, s36, 0
	s_mul_i32 s3, s30, s3
	s_add_u32 s3, s31, s3
	s_addc_u32 s31, 0, s34
	s_add_u32 s34, s2, s3
	s_cselect_b64 s[2:3], -1, 0
	s_cmp_lg_u64 s[2:3], 0
	s_addc_u32 s30, s30, s31
	s_mul_i32 s2, s27, s30
	s_mul_hi_u32 s3, s27, s34
	s_add_i32 s2, s3, s2
	s_mul_i32 s29, s29, s34
	s_add_i32 s2, s2, s29
	s_mul_i32 s27, s27, s34
	s_mul_hi_u32 s29, s30, s27
	s_mul_i32 s31, s30, s27
	s_mul_i32 s36, s34, s2
	s_mul_hi_u32 s27, s34, s27
	s_mul_hi_u32 s35, s34, s2
	s_add_u32 s27, s27, s36
	s_addc_u32 s35, 0, s35
	s_add_u32 s27, s27, s31
	s_mul_hi_u32 s3, s30, s2
	s_addc_u32 s27, s35, s29
	s_addc_u32 s3, s3, 0
	s_mul_i32 s2, s30, s2
	s_add_u32 s2, s27, s2
	s_addc_u32 s27, 0, s3
	s_add_u32 s29, s34, s2
	s_cselect_b64 s[2:3], -1, 0
	s_cmp_lg_u64 s[2:3], 0
	v_add_co_u32_e32 v2, vcc, v3, v9
	s_addc_u32 s27, s30, s27
	v_xor_b32_e32 v10, v2, v9
	v_mad_u64_u32 v[2:3], s[2:3], v10, s27, 0
	v_mul_hi_u32 v6, v10, s29
	v_addc_co_u32_e32 v4, vcc, v4, v9, vcc
	v_xor_b32_e32 v4, v4, v9
	v_add_co_u32_e32 v11, vcc, v6, v2
	v_addc_co_u32_e32 v12, vcc, 0, v3, vcc
	v_mad_u64_u32 v[2:3], s[2:3], v4, s29, 0
	v_mad_u64_u32 v[6:7], s[2:3], v4, s27, 0
	v_add_co_u32_e32 v2, vcc, v11, v2
	v_addc_co_u32_e32 v2, vcc, v12, v3, vcc
	v_addc_co_u32_e32 v3, vcc, 0, v7, vcc
	v_add_co_u32_e32 v6, vcc, v2, v6
	v_addc_co_u32_e32 v2, vcc, 0, v3, vcc
	v_mul_lo_u32 v7, s7, v6
	v_mul_lo_u32 v11, s6, v2
	v_mad_u64_u32 v[2:3], s[2:3], s6, v6, 0
	v_add3_u32 v3, v3, v11, v7
	v_sub_u32_e32 v7, v4, v3
	v_mov_b32_e32 v11, s7
	v_sub_co_u32_e32 v2, vcc, v10, v2
	v_subb_co_u32_e64 v7, s[2:3], v7, v11, vcc
	v_subrev_co_u32_e64 v10, s[2:3], s6, v2
	v_subbrev_co_u32_e64 v7, s[2:3], 0, v7, s[2:3]
	v_cmp_le_u32_e64 s[2:3], s7, v7
	v_subb_co_u32_e32 v3, vcc, v4, v3, vcc
	v_cndmask_b32_e64 v11, 0, -1, s[2:3]
	v_cmp_le_u32_e64 s[2:3], s6, v10
	v_cmp_le_u32_e32 vcc, s7, v3
	v_cndmask_b32_e64 v10, 0, -1, s[2:3]
	v_cmp_eq_u32_e64 s[2:3], s7, v7
	v_cndmask_b32_e64 v4, 0, -1, vcc
	v_cmp_le_u32_e32 vcc, s6, v2
	v_cndmask_b32_e64 v7, v11, v10, s[2:3]
	v_cndmask_b32_e64 v2, 0, -1, vcc
	v_cmp_eq_u32_e32 vcc, s7, v3
	v_add_co_u32_e64 v10, s[2:3], 2, v6
	v_add_co_u32_e64 v11, s[2:3], 1, v6
	v_cndmask_b32_e32 v2, v4, v2, vcc
	v_cmp_ne_u32_e32 vcc, 0, v7
	v_cndmask_b32_e32 v3, v11, v10, vcc
	v_cmp_ne_u32_e32 vcc, 0, v2
	v_cndmask_b32_e32 v2, v6, v3, vcc
	v_xor_b32_e32 v3, s28, v9
	v_xor_b32_e32 v2, v2, v3
	v_sub_co_u32_e32 v6, vcc, v2, v3
                                        ; implicit-def: $vgpr3_vgpr4
.LBB11_18:                              ;   in Loop: Header=BB11_12 Depth=1
	s_andn2_saveexec_b64 s[2:3], s[4:5]
	s_cbranch_execz .LBB11_20
; %bb.19:                               ;   in Loop: Header=BB11_12 Depth=1
	v_mul_hi_u32 v2, v3, v29
	v_mul_lo_u32 v4, v2, s55
	v_add_u32_e32 v6, 1, v2
	v_sub_u32_e32 v3, v3, v4
	v_subrev_u32_e32 v4, s55, v3
	v_cmp_le_u32_e32 vcc, s55, v3
	v_cndmask_b32_e32 v3, v3, v4, vcc
	v_cndmask_b32_e32 v2, v2, v6, vcc
	v_add_u32_e32 v4, 1, v2
	v_cmp_le_u32_e32 vcc, s55, v3
	v_cndmask_b32_e32 v6, v2, v4, vcc
.LBB11_20:                              ;   in Loop: Header=BB11_12 Depth=1
	s_or_b64 exec, exec, s[2:3]
	v_add_co_u32_e32 v2, vcc, 1, v27
	v_addc_co_u32_e32 v3, vcc, 0, v8, vcc
	v_mul_lo_u32 v7, v2, s60
	v_mul_lo_u32 v8, v3, s65
	v_mad_u64_u32 v[3:4], s[2:3], v2, s65, -1
	v_add3_u32 v4, v8, v4, v7
	v_or_b32_e32 v2, s54, v4
	v_cmp_ne_u64_e32 vcc, 0, v[1:2]
                                        ; implicit-def: $vgpr7_vgpr8
	s_and_saveexec_b64 s[2:3], vcc
	s_xor_b64 s[4:5], exec, s[2:3]
	s_cbranch_execnz .LBB11_23
; %bb.21:                               ;   in Loop: Header=BB11_12 Depth=1
	s_andn2_saveexec_b64 s[2:3], s[4:5]
	s_cbranch_execnz .LBB11_24
.LBB11_22:                              ;   in Loop: Header=BB11_12 Depth=1
	s_or_b64 exec, exec, s[2:3]
	s_and_saveexec_b64 s[30:31], s[0:1]
	s_cbranch_execz .LBB11_11
	s_branch .LBB11_25
.LBB11_23:                              ;   in Loop: Header=BB11_12 Depth=1
	s_add_u32 s2, s55, s28
	s_mov_b32 s29, s28
	s_addc_u32 s3, s54, s28
	s_xor_b64 s[6:7], s[2:3], s[28:29]
	v_cvt_f32_u32_e32 v2, s6
	v_cvt_f32_u32_e32 v7, s7
	s_sub_u32 s27, 0, s6
	s_subb_u32 s29, 0, s7
	v_ashrrev_i32_e32 v9, 31, v4
	v_mac_f32_e32 v2, 0x4f800000, v7
	v_rcp_f32_e32 v2, v2
	v_mul_f32_e32 v2, 0x5f7ffffc, v2
	v_mul_f32_e32 v7, 0x2f800000, v2
	v_trunc_f32_e32 v7, v7
	v_mac_f32_e32 v2, 0xcf800000, v7
	v_cvt_u32_f32_e32 v7, v7
	v_cvt_u32_f32_e32 v2, v2
	v_readfirstlane_b32 s30, v7
	v_readfirstlane_b32 s2, v2
	s_mul_i32 s3, s27, s30
	s_mul_hi_u32 s34, s27, s2
	s_mul_i32 s31, s29, s2
	s_add_i32 s3, s34, s3
	s_add_i32 s3, s3, s31
	s_mul_i32 s35, s27, s2
	s_mul_i32 s34, s2, s3
	s_mul_hi_u32 s36, s2, s35
	s_mul_hi_u32 s31, s2, s3
	s_add_u32 s34, s36, s34
	s_addc_u32 s31, 0, s31
	s_mul_hi_u32 s37, s30, s35
	s_mul_i32 s35, s30, s35
	s_add_u32 s34, s34, s35
	s_mul_hi_u32 s36, s30, s3
	s_addc_u32 s31, s31, s37
	s_addc_u32 s34, s36, 0
	s_mul_i32 s3, s30, s3
	s_add_u32 s3, s31, s3
	s_addc_u32 s31, 0, s34
	s_add_u32 s34, s2, s3
	s_cselect_b64 s[2:3], -1, 0
	s_cmp_lg_u64 s[2:3], 0
	s_addc_u32 s30, s30, s31
	s_mul_i32 s2, s27, s30
	s_mul_hi_u32 s3, s27, s34
	s_add_i32 s2, s3, s2
	s_mul_i32 s29, s29, s34
	s_add_i32 s2, s2, s29
	s_mul_i32 s27, s27, s34
	s_mul_hi_u32 s29, s30, s27
	s_mul_i32 s31, s30, s27
	s_mul_i32 s36, s34, s2
	s_mul_hi_u32 s27, s34, s27
	s_mul_hi_u32 s35, s34, s2
	s_add_u32 s27, s27, s36
	s_addc_u32 s35, 0, s35
	s_add_u32 s27, s27, s31
	s_mul_hi_u32 s3, s30, s2
	s_addc_u32 s27, s35, s29
	s_addc_u32 s3, s3, 0
	s_mul_i32 s2, s30, s2
	s_add_u32 s2, s27, s2
	s_addc_u32 s27, 0, s3
	s_add_u32 s29, s34, s2
	s_cselect_b64 s[2:3], -1, 0
	s_cmp_lg_u64 s[2:3], 0
	v_add_co_u32_e32 v2, vcc, v3, v9
	s_addc_u32 s27, s30, s27
	v_xor_b32_e32 v10, v2, v9
	v_mad_u64_u32 v[2:3], s[2:3], v10, s27, 0
	v_mul_hi_u32 v7, v10, s29
	v_addc_co_u32_e32 v4, vcc, v4, v9, vcc
	v_xor_b32_e32 v4, v4, v9
	v_add_co_u32_e32 v11, vcc, v7, v2
	v_addc_co_u32_e32 v12, vcc, 0, v3, vcc
	v_mad_u64_u32 v[2:3], s[2:3], v4, s29, 0
	v_mad_u64_u32 v[7:8], s[2:3], v4, s27, 0
	v_add_co_u32_e32 v2, vcc, v11, v2
	v_addc_co_u32_e32 v2, vcc, v12, v3, vcc
	v_addc_co_u32_e32 v3, vcc, 0, v8, vcc
	v_add_co_u32_e32 v7, vcc, v2, v7
	v_addc_co_u32_e32 v2, vcc, 0, v3, vcc
	v_mul_lo_u32 v8, s7, v7
	v_mul_lo_u32 v11, s6, v2
	v_mad_u64_u32 v[2:3], s[2:3], s6, v7, 0
	v_add3_u32 v3, v3, v11, v8
	v_sub_u32_e32 v8, v4, v3
	v_mov_b32_e32 v11, s7
	v_sub_co_u32_e32 v2, vcc, v10, v2
	v_subb_co_u32_e64 v8, s[2:3], v8, v11, vcc
	v_subrev_co_u32_e64 v10, s[2:3], s6, v2
	v_subbrev_co_u32_e64 v8, s[2:3], 0, v8, s[2:3]
	v_cmp_le_u32_e64 s[2:3], s7, v8
	v_subb_co_u32_e32 v3, vcc, v4, v3, vcc
	v_cndmask_b32_e64 v11, 0, -1, s[2:3]
	v_cmp_le_u32_e64 s[2:3], s6, v10
	v_cmp_le_u32_e32 vcc, s7, v3
	v_cndmask_b32_e64 v10, 0, -1, s[2:3]
	v_cmp_eq_u32_e64 s[2:3], s7, v8
	v_cndmask_b32_e64 v4, 0, -1, vcc
	v_cmp_le_u32_e32 vcc, s6, v2
	v_cndmask_b32_e64 v8, v11, v10, s[2:3]
	v_cndmask_b32_e64 v2, 0, -1, vcc
	v_cmp_eq_u32_e32 vcc, s7, v3
	v_add_co_u32_e64 v10, s[2:3], 2, v7
	v_add_co_u32_e64 v11, s[2:3], 1, v7
	v_cndmask_b32_e32 v2, v4, v2, vcc
	v_cmp_ne_u32_e32 vcc, 0, v8
	v_cndmask_b32_e32 v3, v11, v10, vcc
	v_cmp_ne_u32_e32 vcc, 0, v2
	v_cndmask_b32_e32 v2, v7, v3, vcc
	v_xor_b32_e32 v3, s28, v9
	v_xor_b32_e32 v2, v2, v3
	v_sub_co_u32_e32 v7, vcc, v2, v3
                                        ; implicit-def: $vgpr3_vgpr4
	s_andn2_saveexec_b64 s[2:3], s[4:5]
	s_cbranch_execz .LBB11_22
.LBB11_24:                              ;   in Loop: Header=BB11_12 Depth=1
	v_mul_hi_u32 v2, v3, v29
	v_mul_lo_u32 v4, v2, s55
	v_add_u32_e32 v7, 1, v2
	v_sub_u32_e32 v3, v3, v4
	v_subrev_u32_e32 v4, s55, v3
	v_cmp_le_u32_e32 vcc, s55, v3
	v_cndmask_b32_e32 v3, v3, v4, vcc
	v_cndmask_b32_e32 v2, v2, v7, vcc
	v_add_u32_e32 v4, 1, v2
	v_cmp_le_u32_e32 vcc, s55, v3
	v_cndmask_b32_e32 v7, v2, v4, vcc
	s_or_b64 exec, exec, s[2:3]
	s_and_saveexec_b64 s[30:31], s[0:1]
	s_cbranch_execz .LBB11_11
.LBB11_25:                              ;   in Loop: Header=BB11_12 Depth=1
	v_mul_lo_u32 v8, v27, s10
	v_add_u32_e32 v32, 1, v7
	v_mad_u64_u32 v[3:4], s[2:3], v5, s65, v[6:7]
	v_ashrrev_i32_e32 v9, 31, v8
	v_lshlrev_b64 v[7:8], 1, v[8:9]
	v_mov_b32_e32 v2, s59
	v_mad_u64_u32 v[4:5], s[2:3], s12, v5, v[6:7]
	v_add_co_u32_e32 v33, vcc, s58, v7
	v_addc_co_u32_e32 v34, vcc, v2, v8, vcc
	v_cmp_gt_i32_e64 s[2:3], v32, v3
	s_mov_b64 s[34:35], 0
	v_mov_b32_e32 v5, v0
	s_branch .LBB11_27
.LBB11_26:                              ;   in Loop: Header=BB11_27 Depth=2
	v_add_u32_e32 v5, s11, v5
	v_cmp_le_i32_e32 vcc, s10, v5
	s_or_b64 s[34:35], vcc, s[34:35]
	s_andn2_b64 exec, exec, s[34:35]
	s_cbranch_execz .LBB11_11
.LBB11_27:                              ;   Parent Loop BB11_12 Depth=1
                                        ; =>  This Loop Header: Depth=2
                                        ;       Child Loop BB11_42 Depth 3
                                        ;         Child Loop BB11_56 Depth 4
                                        ;           Child Loop BB11_71 Depth 5
	s_mov_b32 s27, s56
	s_cmp_lg_u64 s[26:27], 0
	v_mov_b32_e32 v6, v1
	s_cselect_b64 s[4:5], -1, 0
                                        ; implicit-def: $vgpr12_vgpr13
	s_and_saveexec_b64 s[6:7], s[4:5]
	s_xor_b64 s[6:7], exec, s[6:7]
	s_cbranch_execz .LBB11_29
; %bb.28:                               ;   in Loop: Header=BB11_27 Depth=2
	s_ashr_i32 s36, s56, 31
	s_add_u32 s4, s57, s36
	s_mov_b32 s37, s36
	s_addc_u32 s5, s56, s36
	s_xor_b64 s[38:39], s[4:5], s[36:37]
	v_cvt_f32_u32_e32 v2, s38
	v_cvt_f32_u32_e32 v7, s39
	s_sub_u32 s27, 0, s38
	s_subb_u32 s29, 0, s39
	v_mac_f32_e32 v2, 0x4f800000, v7
	v_rcp_f32_e32 v2, v2
	v_mul_f32_e32 v2, 0x5f7ffffc, v2
	v_mul_f32_e32 v7, 0x2f800000, v2
	v_trunc_f32_e32 v7, v7
	v_mac_f32_e32 v2, 0xcf800000, v7
	v_cvt_u32_f32_e32 v7, v7
	v_cvt_u32_f32_e32 v2, v2
	v_readfirstlane_b32 s37, v7
	v_readfirstlane_b32 s4, v2
	s_mul_i32 s5, s27, s37
	s_mul_hi_u32 s41, s27, s4
	s_mul_i32 s40, s29, s4
	s_add_i32 s5, s41, s5
	s_add_i32 s5, s5, s40
	s_mul_i32 s42, s27, s4
	s_mul_i32 s41, s4, s5
	s_mul_hi_u32 s43, s4, s42
	s_mul_hi_u32 s40, s4, s5
	s_add_u32 s41, s43, s41
	s_addc_u32 s40, 0, s40
	s_mul_hi_u32 s44, s37, s42
	s_mul_i32 s42, s37, s42
	s_add_u32 s41, s41, s42
	s_mul_hi_u32 s43, s37, s5
	s_addc_u32 s40, s40, s44
	s_addc_u32 s41, s43, 0
	s_mul_i32 s5, s37, s5
	s_add_u32 s5, s40, s5
	s_addc_u32 s40, 0, s41
	s_add_u32 s41, s4, s5
	s_cselect_b64 s[4:5], -1, 0
	s_cmp_lg_u64 s[4:5], 0
	s_addc_u32 s37, s37, s40
	s_mul_i32 s4, s27, s37
	s_mul_hi_u32 s5, s27, s41
	s_add_i32 s4, s5, s4
	s_mul_i32 s29, s29, s41
	s_add_i32 s4, s4, s29
	s_mul_i32 s27, s27, s41
	s_mul_hi_u32 s29, s37, s27
	s_mul_i32 s40, s37, s27
	s_mul_i32 s43, s41, s4
	s_mul_hi_u32 s27, s41, s27
	s_mul_hi_u32 s42, s41, s4
	s_add_u32 s27, s27, s43
	s_addc_u32 s42, 0, s42
	s_add_u32 s27, s27, s40
	s_mul_hi_u32 s5, s37, s4
	s_addc_u32 s27, s42, s29
	s_addc_u32 s5, s5, 0
	s_mul_i32 s4, s37, s4
	s_add_u32 s4, s27, s4
	s_addc_u32 s27, 0, s5
	s_add_u32 s29, s41, s4
	s_cselect_b64 s[4:5], -1, 0
	s_cmp_lg_u64 s[4:5], 0
	s_addc_u32 s27, s37, s27
	v_add_co_u32_e32 v2, vcc, 0, v5
	v_mad_u64_u32 v[7:8], s[4:5], v2, s27, 0
	v_mul_hi_u32 v9, v2, s29
	v_addc_co_u32_e64 v11, s[4:5], 0, 0, vcc
	v_add_co_u32_e32 v12, vcc, v9, v7
	v_addc_co_u32_e32 v13, vcc, 0, v8, vcc
	v_mad_u64_u32 v[7:8], s[4:5], v11, s29, 0
	v_mad_u64_u32 v[9:10], s[4:5], v11, s27, 0
	v_add_co_u32_e32 v7, vcc, v12, v7
	v_addc_co_u32_e32 v7, vcc, v13, v8, vcc
	v_addc_co_u32_e32 v8, vcc, 0, v10, vcc
	v_add_co_u32_e32 v9, vcc, v7, v9
	v_addc_co_u32_e32 v10, vcc, 0, v8, vcc
	v_mul_lo_u32 v12, s39, v9
	v_mul_lo_u32 v13, s38, v10
	v_mad_u64_u32 v[7:8], s[4:5], s38, v9, 0
	v_add3_u32 v8, v8, v13, v12
	v_sub_u32_e32 v12, v11, v8
	v_mov_b32_e32 v13, s39
	v_sub_co_u32_e32 v2, vcc, v2, v7
	v_subb_co_u32_e64 v7, s[4:5], v12, v13, vcc
	v_subrev_co_u32_e64 v12, s[4:5], s38, v2
	v_subbrev_co_u32_e64 v7, s[4:5], 0, v7, s[4:5]
	v_cmp_le_u32_e64 s[4:5], s39, v7
	v_cndmask_b32_e64 v13, 0, -1, s[4:5]
	v_cmp_le_u32_e64 s[4:5], s38, v12
	v_cndmask_b32_e64 v12, 0, -1, s[4:5]
	v_cmp_eq_u32_e64 s[4:5], s39, v7
	v_cndmask_b32_e64 v7, v13, v12, s[4:5]
	v_add_co_u32_e64 v12, s[4:5], 2, v9
	v_subb_co_u32_e32 v8, vcc, v11, v8, vcc
	v_addc_co_u32_e64 v13, s[4:5], 0, v10, s[4:5]
	v_cmp_le_u32_e32 vcc, s39, v8
	v_add_co_u32_e64 v14, s[4:5], 1, v9
	v_cndmask_b32_e64 v11, 0, -1, vcc
	v_cmp_le_u32_e32 vcc, s38, v2
	v_addc_co_u32_e64 v15, s[4:5], 0, v10, s[4:5]
	v_cndmask_b32_e64 v2, 0, -1, vcc
	v_cmp_eq_u32_e32 vcc, s39, v8
	v_cmp_ne_u32_e64 s[4:5], 0, v7
	v_cndmask_b32_e32 v2, v11, v2, vcc
	v_cndmask_b32_e64 v7, v15, v13, s[4:5]
	v_cmp_ne_u32_e32 vcc, 0, v2
	v_cndmask_b32_e32 v2, v10, v7, vcc
	v_cndmask_b32_e64 v7, v14, v12, s[4:5]
	v_cndmask_b32_e32 v7, v9, v7, vcc
	v_xor_b32_e32 v7, s36, v7
	v_xor_b32_e32 v2, s36, v2
	v_mov_b32_e32 v8, s36
	v_subrev_co_u32_e32 v12, vcc, s36, v7
	v_subb_co_u32_e32 v13, vcc, v2, v8, vcc
.LBB11_29:                              ;   in Loop: Header=BB11_27 Depth=2
	s_or_saveexec_b64 s[4:5], s[6:7]
	v_cvt_f32_u32_e32 v11, s57
	s_xor_b64 exec, exec, s[4:5]
	s_cbranch_execz .LBB11_31
; %bb.30:                               ;   in Loop: Header=BB11_27 Depth=2
	v_rcp_iflag_f32_e32 v2, v11
	s_sub_i32 s6, 0, s57
	v_mov_b32_e32 v13, v1
	v_mul_f32_e32 v2, 0x4f7ffffe, v2
	v_cvt_u32_f32_e32 v2, v2
	v_mul_lo_u32 v7, s6, v2
	v_mul_hi_u32 v7, v2, v7
	v_add_u32_e32 v2, v2, v7
	v_mul_hi_u32 v2, v5, v2
	v_mul_lo_u32 v7, v2, s57
	v_add_u32_e32 v8, 1, v2
	v_sub_u32_e32 v7, v5, v7
	v_subrev_u32_e32 v9, s57, v7
	v_cmp_le_u32_e32 vcc, s57, v7
	v_cndmask_b32_e32 v7, v7, v9, vcc
	v_cndmask_b32_e32 v2, v2, v8, vcc
	v_add_u32_e32 v8, 1, v2
	v_cmp_le_u32_e32 vcc, s57, v7
	v_cndmask_b32_e32 v12, v2, v8, vcc
.LBB11_31:                              ;   in Loop: Header=BB11_27 Depth=2
	s_or_b64 exec, exec, s[4:5]
	v_mul_lo_u32 v2, v13, s57
	v_mul_lo_u32 v9, v12, s56
	v_mad_u64_u32 v[7:8], s[4:5], v12, s57, 0
                                        ; implicit-def: $vgpr13_vgpr14
	v_add3_u32 v2, v8, v9, v2
	v_sub_co_u32_e32 v7, vcc, v5, v7
	v_subb_co_u32_e32 v2, vcc, 0, v2, vcc
	v_mul_lo_u32 v2, v2, s66
	v_mul_lo_u32 v9, v7, s61
	v_mad_u64_u32 v[7:8], s[4:5], v7, s66, 0
	v_add3_u32 v8, v8, v9, v2
	v_or_b32_e32 v2, s56, v8
	v_cmp_ne_u64_e32 vcc, 0, v[1:2]
	s_and_saveexec_b64 s[4:5], vcc
	s_xor_b64 s[6:7], exec, s[4:5]
	s_cbranch_execz .LBB11_33
; %bb.32:                               ;   in Loop: Header=BB11_27 Depth=2
	s_ashr_i32 s36, s56, 31
	s_add_u32 s4, s57, s36
	s_mov_b32 s37, s36
	s_addc_u32 s5, s56, s36
	s_xor_b64 s[38:39], s[4:5], s[36:37]
	v_cvt_f32_u32_e32 v2, s38
	v_cvt_f32_u32_e32 v9, s39
	s_sub_u32 s27, 0, s38
	s_subb_u32 s29, 0, s39
	v_mac_f32_e32 v2, 0x4f800000, v9
	v_rcp_f32_e32 v2, v2
	v_mul_f32_e32 v2, 0x5f7ffffc, v2
	v_mul_f32_e32 v9, 0x2f800000, v2
	v_trunc_f32_e32 v9, v9
	v_mac_f32_e32 v2, 0xcf800000, v9
	v_cvt_u32_f32_e32 v9, v9
	v_cvt_u32_f32_e32 v2, v2
	v_readfirstlane_b32 s37, v9
	v_readfirstlane_b32 s4, v2
	s_mul_i32 s5, s27, s37
	s_mul_hi_u32 s41, s27, s4
	s_mul_i32 s40, s29, s4
	s_add_i32 s5, s41, s5
	s_add_i32 s5, s5, s40
	s_mul_i32 s42, s27, s4
	s_mul_i32 s41, s4, s5
	s_mul_hi_u32 s43, s4, s42
	s_mul_hi_u32 s40, s4, s5
	s_add_u32 s41, s43, s41
	s_addc_u32 s40, 0, s40
	s_mul_hi_u32 s44, s37, s42
	s_mul_i32 s42, s37, s42
	s_add_u32 s41, s41, s42
	s_mul_hi_u32 s43, s37, s5
	s_addc_u32 s40, s40, s44
	s_addc_u32 s41, s43, 0
	s_mul_i32 s5, s37, s5
	s_add_u32 s5, s40, s5
	s_addc_u32 s40, 0, s41
	s_add_u32 s41, s4, s5
	s_cselect_b64 s[4:5], -1, 0
	s_cmp_lg_u64 s[4:5], 0
	s_addc_u32 s37, s37, s40
	s_mul_i32 s4, s27, s37
	s_mul_hi_u32 s5, s27, s41
	s_add_i32 s4, s5, s4
	s_mul_i32 s29, s29, s41
	s_add_i32 s4, s4, s29
	s_mul_i32 s27, s27, s41
	s_mul_hi_u32 s29, s37, s27
	s_mul_i32 s40, s37, s27
	s_mul_i32 s43, s41, s4
	s_mul_hi_u32 s27, s41, s27
	s_mul_hi_u32 s42, s41, s4
	s_add_u32 s27, s27, s43
	s_addc_u32 s42, 0, s42
	s_add_u32 s27, s27, s40
	s_mul_hi_u32 s5, s37, s4
	s_addc_u32 s27, s42, s29
	s_addc_u32 s5, s5, 0
	s_mul_i32 s4, s37, s4
	s_add_u32 s4, s27, s4
	s_addc_u32 s27, 0, s5
	s_add_u32 s29, s41, s4
	s_cselect_b64 s[4:5], -1, 0
	v_ashrrev_i32_e32 v2, 31, v8
	s_cmp_lg_u64 s[4:5], 0
	v_add_co_u32_e32 v7, vcc, v7, v2
	s_addc_u32 s27, s37, s27
	v_xor_b32_e32 v13, v7, v2
	v_addc_co_u32_e32 v9, vcc, v8, v2, vcc
	v_mad_u64_u32 v[7:8], s[4:5], v13, s27, 0
	v_mul_hi_u32 v10, v13, s29
	v_xor_b32_e32 v14, v9, v2
	v_xor_b32_e32 v2, s36, v2
	v_add_co_u32_e32 v15, vcc, v10, v7
	v_addc_co_u32_e32 v16, vcc, 0, v8, vcc
	v_mad_u64_u32 v[7:8], s[4:5], v14, s29, 0
	v_mad_u64_u32 v[9:10], s[4:5], v14, s27, 0
	v_add_co_u32_e32 v7, vcc, v15, v7
	v_addc_co_u32_e32 v7, vcc, v16, v8, vcc
	v_addc_co_u32_e32 v8, vcc, 0, v10, vcc
	v_add_co_u32_e32 v9, vcc, v7, v9
	v_addc_co_u32_e32 v7, vcc, 0, v8, vcc
	v_mul_lo_u32 v10, s39, v9
	v_mul_lo_u32 v15, s38, v7
	v_mad_u64_u32 v[7:8], s[4:5], s38, v9, 0
	v_add3_u32 v8, v8, v15, v10
	v_sub_u32_e32 v10, v14, v8
	v_mov_b32_e32 v15, s39
	v_sub_co_u32_e32 v7, vcc, v13, v7
	v_subb_co_u32_e64 v10, s[4:5], v10, v15, vcc
	v_subrev_co_u32_e64 v13, s[4:5], s38, v7
	v_subbrev_co_u32_e64 v10, s[4:5], 0, v10, s[4:5]
	v_cmp_le_u32_e64 s[4:5], s39, v10
	v_subb_co_u32_e32 v8, vcc, v14, v8, vcc
	v_cndmask_b32_e64 v15, 0, -1, s[4:5]
	v_cmp_le_u32_e64 s[4:5], s38, v13
	v_cmp_le_u32_e32 vcc, s39, v8
	v_cndmask_b32_e64 v13, 0, -1, s[4:5]
	v_cmp_eq_u32_e64 s[4:5], s39, v10
	v_cndmask_b32_e64 v14, 0, -1, vcc
	v_cmp_le_u32_e32 vcc, s38, v7
	v_cndmask_b32_e64 v10, v15, v13, s[4:5]
	v_cndmask_b32_e64 v7, 0, -1, vcc
	v_cmp_eq_u32_e32 vcc, s39, v8
	v_add_co_u32_e64 v13, s[4:5], 2, v9
	v_add_co_u32_e64 v15, s[4:5], 1, v9
	v_cndmask_b32_e32 v7, v14, v7, vcc
	v_cmp_ne_u32_e32 vcc, 0, v10
	v_cndmask_b32_e32 v8, v15, v13, vcc
	v_cmp_ne_u32_e32 vcc, 0, v7
	v_cndmask_b32_e32 v7, v9, v8, vcc
	v_xor_b32_e32 v7, v7, v2
	v_sub_co_u32_e32 v13, vcc, v7, v2
                                        ; implicit-def: $vgpr7_vgpr8
.LBB11_33:                              ;   in Loop: Header=BB11_27 Depth=2
	s_andn2_saveexec_b64 s[4:5], s[6:7]
	s_cbranch_execz .LBB11_35
; %bb.34:                               ;   in Loop: Header=BB11_27 Depth=2
	v_rcp_iflag_f32_e32 v2, v11
	s_sub_i32 s6, 0, s57
	v_mul_f32_e32 v2, 0x4f7ffffe, v2
	v_cvt_u32_f32_e32 v2, v2
	v_mul_lo_u32 v8, s6, v2
	v_mul_hi_u32 v8, v2, v8
	v_add_u32_e32 v2, v2, v8
	v_mul_hi_u32 v2, v7, v2
	v_mul_lo_u32 v8, v2, s57
	v_add_u32_e32 v9, 1, v2
	v_sub_u32_e32 v7, v7, v8
	v_subrev_u32_e32 v8, s57, v7
	v_cmp_le_u32_e32 vcc, s57, v7
	v_cndmask_b32_e32 v7, v7, v8, vcc
	v_cndmask_b32_e32 v2, v2, v9, vcc
	v_add_u32_e32 v8, 1, v2
	v_cmp_le_u32_e32 vcc, s57, v7
	v_cndmask_b32_e32 v13, v2, v8, vcc
.LBB11_35:                              ;   in Loop: Header=BB11_27 Depth=2
	s_or_b64 exec, exec, s[4:5]
	v_add_u32_e32 v9, 1, v5
	v_mad_u64_u32 v[7:8], s[4:5], v9, s66, -1
	v_mov_b32_e32 v2, v8
	v_mad_u64_u32 v[8:9], s[4:5], v9, s61, v[2:3]
                                        ; implicit-def: $vgpr9_vgpr10
	v_or_b32_e32 v2, s56, v8
	v_cmp_ne_u64_e32 vcc, 0, v[1:2]
	v_mov_b32_e32 v2, v8
	s_and_saveexec_b64 s[4:5], vcc
	s_xor_b64 s[6:7], exec, s[4:5]
	s_cbranch_execnz .LBB11_38
; %bb.36:                               ;   in Loop: Header=BB11_27 Depth=2
	s_andn2_saveexec_b64 s[4:5], s[6:7]
	s_cbranch_execnz .LBB11_39
.LBB11_37:                              ;   in Loop: Header=BB11_27 Depth=2
	s_or_b64 exec, exec, s[4:5]
	s_andn2_b64 vcc, exec, s[18:19]
	s_cbranch_vccnz .LBB11_26
	s_branch .LBB11_40
.LBB11_38:                              ;   in Loop: Header=BB11_27 Depth=2
	s_ashr_i32 s36, s56, 31
	s_add_u32 s4, s57, s36
	s_mov_b32 s37, s36
	s_addc_u32 s5, s56, s36
	s_xor_b64 s[38:39], s[4:5], s[36:37]
	v_cvt_f32_u32_e32 v8, s38
	v_cvt_f32_u32_e32 v9, s39
	s_sub_u32 s27, 0, s38
	s_subb_u32 s29, 0, s39
	v_ashrrev_i32_e32 v11, 31, v2
	v_mac_f32_e32 v8, 0x4f800000, v9
	v_rcp_f32_e32 v8, v8
	v_add_co_u32_e32 v7, vcc, v7, v11
	v_xor_b32_e32 v14, v7, v11
	v_mul_f32_e32 v8, 0x5f7ffffc, v8
	v_mul_f32_e32 v9, 0x2f800000, v8
	v_trunc_f32_e32 v9, v9
	v_mac_f32_e32 v8, 0xcf800000, v9
	v_cvt_u32_f32_e32 v9, v9
	v_cvt_u32_f32_e32 v8, v8
	v_addc_co_u32_e32 v2, vcc, v2, v11, vcc
	v_readfirstlane_b32 s37, v9
	v_readfirstlane_b32 s4, v8
	s_mul_i32 s5, s27, s37
	s_mul_hi_u32 s41, s27, s4
	s_mul_i32 s40, s29, s4
	s_add_i32 s5, s41, s5
	s_add_i32 s5, s5, s40
	s_mul_i32 s42, s27, s4
	s_mul_i32 s41, s4, s5
	s_mul_hi_u32 s43, s4, s42
	s_mul_hi_u32 s40, s4, s5
	s_add_u32 s41, s43, s41
	s_addc_u32 s40, 0, s40
	s_mul_hi_u32 s44, s37, s42
	s_mul_i32 s42, s37, s42
	s_add_u32 s41, s41, s42
	s_mul_hi_u32 s43, s37, s5
	s_addc_u32 s40, s40, s44
	s_addc_u32 s41, s43, 0
	s_mul_i32 s5, s37, s5
	s_add_u32 s5, s40, s5
	s_addc_u32 s40, 0, s41
	s_add_u32 s41, s4, s5
	s_cselect_b64 s[4:5], -1, 0
	s_cmp_lg_u64 s[4:5], 0
	s_addc_u32 s37, s37, s40
	s_mul_i32 s4, s27, s37
	s_mul_hi_u32 s5, s27, s41
	s_add_i32 s4, s5, s4
	s_mul_i32 s29, s29, s41
	s_add_i32 s4, s4, s29
	s_mul_i32 s27, s27, s41
	s_mul_hi_u32 s29, s37, s27
	s_mul_i32 s40, s37, s27
	s_mul_i32 s43, s41, s4
	s_mul_hi_u32 s27, s41, s27
	s_mul_hi_u32 s42, s41, s4
	s_add_u32 s27, s27, s43
	s_addc_u32 s42, 0, s42
	s_add_u32 s27, s27, s40
	s_mul_hi_u32 s5, s37, s4
	s_addc_u32 s27, s42, s29
	s_addc_u32 s5, s5, 0
	s_mul_i32 s4, s37, s4
	s_add_u32 s4, s27, s4
	s_addc_u32 s27, 0, s5
	s_add_u32 s29, s41, s4
	s_cselect_b64 s[4:5], -1, 0
	s_cmp_lg_u64 s[4:5], 0
	s_addc_u32 s27, s37, s27
	v_mad_u64_u32 v[7:8], s[4:5], v14, s27, 0
	v_mul_hi_u32 v9, v14, s29
	v_xor_b32_e32 v2, v2, v11
	v_add_co_u32_e32 v15, vcc, v9, v7
	v_addc_co_u32_e32 v16, vcc, 0, v8, vcc
	v_mad_u64_u32 v[7:8], s[4:5], v2, s29, 0
	v_mad_u64_u32 v[9:10], s[4:5], v2, s27, 0
	v_add_co_u32_e32 v7, vcc, v15, v7
	v_addc_co_u32_e32 v7, vcc, v16, v8, vcc
	v_addc_co_u32_e32 v8, vcc, 0, v10, vcc
	v_add_co_u32_e32 v9, vcc, v7, v9
	v_addc_co_u32_e32 v7, vcc, 0, v8, vcc
	v_mul_lo_u32 v10, s39, v9
	v_mul_lo_u32 v15, s38, v7
	v_mad_u64_u32 v[7:8], s[4:5], s38, v9, 0
	v_add3_u32 v8, v8, v15, v10
	v_sub_u32_e32 v10, v2, v8
	v_mov_b32_e32 v15, s39
	v_sub_co_u32_e32 v7, vcc, v14, v7
	v_subb_co_u32_e64 v10, s[4:5], v10, v15, vcc
	v_subrev_co_u32_e64 v14, s[4:5], s38, v7
	v_subbrev_co_u32_e64 v10, s[4:5], 0, v10, s[4:5]
	v_cmp_le_u32_e64 s[4:5], s39, v10
	v_subb_co_u32_e32 v2, vcc, v2, v8, vcc
	v_cndmask_b32_e64 v15, 0, -1, s[4:5]
	v_cmp_le_u32_e64 s[4:5], s38, v14
	v_cmp_le_u32_e32 vcc, s39, v2
	v_cndmask_b32_e64 v14, 0, -1, s[4:5]
	v_cmp_eq_u32_e64 s[4:5], s39, v10
	v_cndmask_b32_e64 v8, 0, -1, vcc
	v_cmp_le_u32_e32 vcc, s38, v7
	v_cndmask_b32_e64 v10, v15, v14, s[4:5]
	v_cndmask_b32_e64 v7, 0, -1, vcc
	v_cmp_eq_u32_e32 vcc, s39, v2
	v_add_co_u32_e64 v14, s[4:5], 2, v9
	v_add_co_u32_e64 v15, s[4:5], 1, v9
	v_cndmask_b32_e32 v2, v8, v7, vcc
	v_cmp_ne_u32_e32 vcc, 0, v10
	v_cndmask_b32_e32 v7, v15, v14, vcc
	v_cmp_ne_u32_e32 vcc, 0, v2
	v_cndmask_b32_e32 v2, v9, v7, vcc
	v_xor_b32_e32 v7, s36, v11
	v_xor_b32_e32 v2, v2, v7
	v_sub_co_u32_e32 v9, vcc, v2, v7
                                        ; implicit-def: $vgpr11
                                        ; implicit-def: $vgpr7_vgpr8
	s_andn2_saveexec_b64 s[4:5], s[6:7]
	s_cbranch_execz .LBB11_37
.LBB11_39:                              ;   in Loop: Header=BB11_27 Depth=2
	v_rcp_iflag_f32_e32 v2, v11
	s_sub_i32 s6, 0, s57
	v_mul_f32_e32 v2, 0x4f7ffffe, v2
	v_cvt_u32_f32_e32 v2, v2
	v_mul_lo_u32 v8, s6, v2
	v_mul_hi_u32 v8, v2, v8
	v_add_u32_e32 v2, v2, v8
	v_mul_hi_u32 v2, v7, v2
	v_mul_lo_u32 v8, v2, s57
	v_add_u32_e32 v9, 1, v2
	v_sub_u32_e32 v7, v7, v8
	v_subrev_u32_e32 v8, s57, v7
	v_cmp_le_u32_e32 vcc, s57, v7
	v_cndmask_b32_e32 v7, v7, v8, vcc
	v_cndmask_b32_e32 v2, v2, v9, vcc
	v_add_u32_e32 v8, 1, v2
	v_cmp_le_u32_e32 vcc, s57, v7
	v_cndmask_b32_e32 v9, v2, v8, vcc
	s_or_b64 exec, exec, s[4:5]
	s_andn2_b64 vcc, exec, s[18:19]
	s_cbranch_vccnz .LBB11_26
.LBB11_40:                              ;   in Loop: Header=BB11_27 Depth=2
	v_add_u32_e32 v35, 1, v9
	v_lshlrev_b64 v[8:9], 1, v[5:6]
	v_mad_u64_u32 v[6:7], s[4:5], v12, s66, v[13:14]
	v_add_co_u32_e32 v8, vcc, v33, v8
	v_addc_co_u32_e32 v9, vcc, v34, v9, vcc
	v_ashrrev_i32_e32 v7, 31, v6
	v_add_co_u32_e32 v2, vcc, 1, v6
	v_addc_co_u32_e32 v10, vcc, 0, v7, vcc
	v_mul_lo_u32 v14, s57, v10
	v_mul_lo_u32 v15, s56, v2
	v_mad_u64_u32 v[10:11], s[6:7], s57, v2, -1
	v_add_u32_e32 v2, v4, v12
	v_mad_u64_u32 v[12:13], s[6:7], s13, v2, v[13:14]
	v_cmp_gt_i32_e64 s[4:5], v35, v6
	v_add3_u32 v11, v15, v11, v14
	s_mov_b64 s[36:37], s[20:21]
	s_mov_b32 s38, s8
	s_branch .LBB11_42
.LBB11_41:                              ;   in Loop: Header=BB11_42 Depth=3
	s_or_b64 exec, exec, s[40:41]
	s_add_i32 s38, s38, 1
	s_add_u32 s36, s36, s22
	s_addc_u32 s37, s37, s23
	s_cmp_lt_i32 s38, s33
	s_cbranch_scc0 .LBB11_26
.LBB11_42:                              ;   Parent Loop BB11_12 Depth=1
                                        ;     Parent Loop BB11_27 Depth=2
                                        ; =>    This Loop Header: Depth=3
                                        ;         Child Loop BB11_56 Depth 4
                                        ;           Child Loop BB11_71 Depth 5
	s_ashr_i32 s39, s38, 31
	s_add_u32 s6, s38, 1
	s_addc_u32 s7, s39, 0
	s_mul_i32 s27, s6, s15
	s_mul_hi_u32 s29, s6, s14
	s_add_i32 s27, s29, s27
	s_mul_i32 s7, s7, s14
	s_add_i32 s27, s27, s7
	s_mul_i32 s6, s6, s14
	s_add_u32 s6, s6, -1
	s_addc_u32 s7, s27, -1
	s_or_b64 s[40:41], s[6:7], s[16:17]
	s_mov_b32 s27, s41
	s_cmp_lg_u64 s[26:27], 0
	s_cbranch_scc0 .LBB11_44
; %bb.43:                               ;   in Loop: Header=BB11_42 Depth=3
	s_ashr_i32 s40, s17, 31
	s_add_u32 s42, s16, s40
	s_mov_b32 s41, s40
	s_addc_u32 s43, s17, s40
	s_xor_b64 s[42:43], s[42:43], s[40:41]
	v_cvt_f32_u32_e32 v2, s42
	v_cvt_f32_u32_e32 v13, s43
	s_sub_u32 s27, 0, s42
	s_subb_u32 s29, 0, s43
	v_mac_f32_e32 v2, 0x4f800000, v13
	v_rcp_f32_e32 v2, v2
	v_mul_f32_e32 v2, 0x5f7ffffc, v2
	v_mul_f32_e32 v13, 0x2f800000, v2
	v_trunc_f32_e32 v13, v13
	v_mac_f32_e32 v2, 0xcf800000, v13
	v_cvt_u32_f32_e32 v13, v13
	v_cvt_u32_f32_e32 v2, v2
	v_readfirstlane_b32 s46, v13
	v_readfirstlane_b32 s44, v2
	s_mul_i32 s45, s27, s46
	s_mul_hi_u32 s48, s27, s44
	s_mul_i32 s47, s29, s44
	s_add_i32 s45, s48, s45
	s_add_i32 s45, s45, s47
	s_mul_i32 s49, s27, s44
	s_mul_i32 s48, s44, s45
	s_mul_hi_u32 s50, s44, s49
	s_mul_hi_u32 s47, s44, s45
	s_add_u32 s48, s50, s48
	s_addc_u32 s47, 0, s47
	s_mul_hi_u32 s51, s46, s49
	s_mul_i32 s49, s46, s49
	s_add_u32 s48, s48, s49
	s_mul_hi_u32 s50, s46, s45
	s_addc_u32 s47, s47, s51
	s_addc_u32 s48, s50, 0
	s_mul_i32 s45, s46, s45
	s_add_u32 s45, s47, s45
	s_addc_u32 s47, 0, s48
	s_add_u32 s48, s44, s45
	s_cselect_b64 s[44:45], -1, 0
	s_cmp_lg_u64 s[44:45], 0
	s_addc_u32 s46, s46, s47
	s_mul_i32 s44, s27, s46
	s_mul_hi_u32 s45, s27, s48
	s_add_i32 s44, s45, s44
	s_mul_i32 s29, s29, s48
	s_add_i32 s44, s44, s29
	s_mul_i32 s27, s27, s48
	s_mul_hi_u32 s45, s46, s27
	s_mul_i32 s47, s46, s27
	s_mul_i32 s50, s48, s44
	s_mul_hi_u32 s27, s48, s27
	s_mul_hi_u32 s49, s48, s44
	s_add_u32 s27, s27, s50
	s_addc_u32 s49, 0, s49
	s_add_u32 s27, s27, s47
	s_mul_hi_u32 s29, s46, s44
	s_addc_u32 s27, s49, s45
	s_addc_u32 s29, s29, 0
	s_mul_i32 s44, s46, s44
	s_add_u32 s27, s27, s44
	s_addc_u32 s29, 0, s29
	s_add_u32 s27, s48, s27
	s_cselect_b64 s[44:45], -1, 0
	s_cmp_lg_u64 s[44:45], 0
	s_addc_u32 s29, s46, s29
	s_ashr_i32 s44, s7, 31
	s_add_u32 s46, s6, s44
	s_mov_b32 s45, s44
	s_addc_u32 s47, s7, s44
	s_xor_b64 s[46:47], s[46:47], s[44:45]
	s_mul_i32 s48, s46, s29
	s_mul_hi_u32 s49, s46, s27
	s_mul_hi_u32 s7, s46, s29
	s_add_u32 s48, s49, s48
	s_addc_u32 s7, 0, s7
	s_mul_hi_u32 s50, s47, s27
	s_mul_i32 s27, s47, s27
	s_add_u32 s27, s48, s27
	s_mul_hi_u32 s49, s47, s29
	s_addc_u32 s7, s7, s50
	s_addc_u32 s27, s49, 0
	s_mul_i32 s29, s47, s29
	s_add_u32 s7, s7, s29
	s_addc_u32 s27, 0, s27
	s_mul_i32 s29, s42, s27
	s_mul_hi_u32 s48, s42, s7
	s_add_i32 s29, s48, s29
	s_mul_i32 s48, s43, s7
	s_add_i32 s29, s29, s48
	s_sub_i32 s50, s47, s29
	s_mul_i32 s48, s42, s7
	s_sub_u32 s46, s46, s48
	s_cselect_b64 s[48:49], -1, 0
	s_cmp_lg_u64 s[48:49], 0
	s_subb_u32 s52, s50, s43
	s_sub_u32 s53, s46, s42
	s_cselect_b64 s[50:51], -1, 0
	s_cmp_lg_u64 s[50:51], 0
	s_subb_u32 s50, s52, 0
	s_cmp_ge_u32 s50, s43
	s_cselect_b32 s51, -1, 0
	s_cmp_ge_u32 s53, s42
	s_cselect_b32 s52, -1, 0
	s_cmp_eq_u32 s50, s43
	s_cselect_b32 s50, s52, s51
	s_add_u32 s51, s7, 1
	s_addc_u32 s52, s27, 0
	s_add_u32 s53, s7, 2
	s_addc_u32 s68, s27, 0
	s_cmp_lg_u32 s50, 0
	s_cselect_b32 s50, s53, s51
	s_cselect_b32 s51, s68, s52
	s_cmp_lg_u64 s[48:49], 0
	s_subb_u32 s29, s47, s29
	s_cmp_ge_u32 s29, s43
	s_cselect_b32 s47, -1, 0
	s_cmp_ge_u32 s46, s42
	s_cselect_b32 s42, -1, 0
	s_cmp_eq_u32 s29, s43
	s_cselect_b32 s29, s42, s47
	s_cmp_lg_u32 s29, 0
	s_cselect_b32 s43, s51, s27
	s_cselect_b32 s42, s50, s7
	s_xor_b64 s[40:41], s[44:45], s[40:41]
	s_xor_b64 s[42:43], s[42:43], s[40:41]
	s_sub_u32 s40, s42, s40
	s_subb_u32 s41, s43, s41
	s_mov_b64 s[42:43], 0
	s_branch .LBB11_45
.LBB11_44:                              ;   in Loop: Header=BB11_42 Depth=3
	s_mov_b64 s[42:43], -1
                                        ; implicit-def: $sgpr40_sgpr41
.LBB11_45:                              ;   in Loop: Header=BB11_42 Depth=3
	v_cvt_f32_u32_e32 v2, s16
	s_andn2_b64 vcc, exec, s[42:43]
	v_mov_b32_e32 v13, s40
	v_mov_b32_e32 v14, s41
	v_rcp_iflag_f32_e32 v2, v2
	s_cbranch_vccnz .LBB11_47
; %bb.46:                               ;   in Loop: Header=BB11_42 Depth=3
	v_mul_f32_e32 v13, 0x4f7ffffe, v2
	v_cvt_u32_f32_e32 v13, v13
	s_sub_i32 s7, 0, s16
	v_mul_lo_u32 v14, s7, v13
	v_mul_hi_u32 v14, v13, v14
	v_add_u32_e32 v13, v13, v14
	v_mul_hi_u32 v13, s6, v13
	v_mul_lo_u32 v14, v13, s16
	v_add_u32_e32 v15, 1, v13
	v_sub_u32_e32 v14, s6, v14
	v_subrev_u32_e32 v16, s16, v14
	v_cmp_le_u32_e32 vcc, s16, v14
	v_cndmask_b32_e32 v14, v14, v16, vcc
	v_cndmask_b32_e32 v13, v13, v15, vcc
	v_add_u32_e32 v15, 1, v13
	v_cmp_le_u32_e32 vcc, s16, v14
	v_cndmask_b32_e32 v13, v13, v15, vcc
.LBB11_47:                              ;   in Loop: Header=BB11_42 Depth=3
	s_or_b64 s[6:7], s[38:39], s[16:17]
	s_mov_b32 s27, s7
	s_cmp_lg_u64 s[26:27], 0
	s_cbranch_scc0 .LBB11_83
; %bb.48:                               ;   in Loop: Header=BB11_42 Depth=3
	s_ashr_i32 s6, s17, 31
	s_add_u32 s40, s16, s6
	s_mov_b32 s7, s6
	s_addc_u32 s41, s17, s6
	s_xor_b64 s[40:41], s[40:41], s[6:7]
	v_cvt_f32_u32_e32 v14, s40
	v_cvt_f32_u32_e32 v15, s41
	s_sub_u32 s27, 0, s40
	s_subb_u32 s29, 0, s41
	v_mac_f32_e32 v14, 0x4f800000, v15
	v_rcp_f32_e32 v14, v14
	v_mul_f32_e32 v14, 0x5f7ffffc, v14
	v_mul_f32_e32 v15, 0x2f800000, v14
	v_trunc_f32_e32 v15, v15
	v_mac_f32_e32 v14, 0xcf800000, v15
	v_cvt_u32_f32_e32 v15, v15
	v_cvt_u32_f32_e32 v14, v14
	v_readfirstlane_b32 s44, v15
	v_readfirstlane_b32 s42, v14
	s_mul_i32 s43, s27, s44
	s_mul_hi_u32 s46, s27, s42
	s_mul_i32 s45, s29, s42
	s_add_i32 s43, s46, s43
	s_add_i32 s43, s43, s45
	s_mul_i32 s47, s27, s42
	s_mul_i32 s46, s42, s43
	s_mul_hi_u32 s48, s42, s47
	s_mul_hi_u32 s45, s42, s43
	s_add_u32 s46, s48, s46
	s_addc_u32 s45, 0, s45
	s_mul_hi_u32 s49, s44, s47
	s_mul_i32 s47, s44, s47
	s_add_u32 s46, s46, s47
	s_mul_hi_u32 s48, s44, s43
	s_addc_u32 s45, s45, s49
	s_addc_u32 s46, s48, 0
	s_mul_i32 s43, s44, s43
	s_add_u32 s43, s45, s43
	s_addc_u32 s45, 0, s46
	s_add_u32 s46, s42, s43
	s_cselect_b64 s[42:43], -1, 0
	s_cmp_lg_u64 s[42:43], 0
	s_addc_u32 s44, s44, s45
	s_mul_i32 s42, s27, s44
	s_mul_hi_u32 s43, s27, s46
	s_add_i32 s42, s43, s42
	s_mul_i32 s29, s29, s46
	s_add_i32 s42, s42, s29
	s_mul_i32 s27, s27, s46
	s_mul_hi_u32 s43, s44, s27
	s_mul_i32 s45, s44, s27
	s_mul_i32 s48, s46, s42
	s_mul_hi_u32 s27, s46, s27
	s_mul_hi_u32 s47, s46, s42
	s_add_u32 s27, s27, s48
	s_addc_u32 s47, 0, s47
	s_add_u32 s27, s27, s45
	s_mul_hi_u32 s29, s44, s42
	s_addc_u32 s27, s47, s43
	s_addc_u32 s29, s29, 0
	s_mul_i32 s42, s44, s42
	s_add_u32 s27, s27, s42
	s_addc_u32 s29, 0, s29
	s_add_u32 s27, s46, s27
	s_cselect_b64 s[42:43], -1, 0
	s_cmp_lg_u64 s[42:43], 0
	s_addc_u32 s29, s44, s29
	s_ashr_i32 s42, s39, 31
	s_add_u32 s44, s38, s42
	s_mov_b32 s43, s42
	s_addc_u32 s45, s39, s42
	s_xor_b64 s[44:45], s[44:45], s[42:43]
	s_mul_i32 s47, s44, s29
	s_mul_hi_u32 s48, s44, s27
	s_mul_hi_u32 s46, s44, s29
	s_add_u32 s47, s48, s47
	s_addc_u32 s46, 0, s46
	s_mul_hi_u32 s49, s45, s27
	s_mul_i32 s27, s45, s27
	s_add_u32 s27, s47, s27
	s_mul_hi_u32 s48, s45, s29
	s_addc_u32 s27, s46, s49
	s_addc_u32 s46, s48, 0
	s_mul_i32 s29, s45, s29
	s_add_u32 s27, s27, s29
	s_addc_u32 s29, 0, s46
	s_mul_i32 s46, s40, s29
	s_mul_hi_u32 s47, s40, s27
	s_add_i32 s46, s47, s46
	s_mul_i32 s47, s41, s27
	s_add_i32 s50, s46, s47
	s_sub_i32 s48, s45, s50
	s_mul_i32 s46, s40, s27
	s_sub_u32 s44, s44, s46
	s_cselect_b64 s[46:47], -1, 0
	s_cmp_lg_u64 s[46:47], 0
	s_subb_u32 s51, s48, s41
	s_sub_u32 s52, s44, s40
	s_cselect_b64 s[48:49], -1, 0
	s_cmp_lg_u64 s[48:49], 0
	s_subb_u32 s48, s51, 0
	s_cmp_ge_u32 s48, s41
	s_cselect_b32 s49, -1, 0
	s_cmp_ge_u32 s52, s40
	s_cselect_b32 s51, -1, 0
	s_cmp_eq_u32 s48, s41
	s_cselect_b32 s48, s51, s49
	s_add_u32 s49, s27, 1
	s_addc_u32 s51, s29, 0
	s_add_u32 s52, s27, 2
	s_addc_u32 s53, s29, 0
	s_cmp_lg_u32 s48, 0
	s_cselect_b32 s48, s52, s49
	s_cselect_b32 s49, s53, s51
	s_cmp_lg_u64 s[46:47], 0
	s_subb_u32 s45, s45, s50
	s_cmp_ge_u32 s45, s41
	s_cselect_b32 s46, -1, 0
	s_cmp_ge_u32 s44, s40
	s_cselect_b32 s40, -1, 0
	s_cmp_eq_u32 s45, s41
	s_cselect_b32 s40, s40, s46
	s_cmp_lg_u32 s40, 0
	s_cselect_b32 s41, s49, s29
	s_cselect_b32 s40, s48, s27
	s_xor_b64 s[6:7], s[42:43], s[6:7]
	s_xor_b64 s[40:41], s[40:41], s[6:7]
	s_sub_u32 s6, s40, s6
	s_subb_u32 s7, s41, s7
	s_cbranch_execnz .LBB11_50
.LBB11_49:                              ;   in Loop: Header=BB11_42 Depth=3
	v_mul_f32_e32 v14, 0x4f7ffffe, v2
	v_cvt_u32_f32_e32 v14, v14
	s_sub_i32 s6, 0, s16
	v_readfirstlane_b32 s7, v14
	s_mul_i32 s6, s6, s7
	s_mul_hi_u32 s6, s7, s6
	s_add_i32 s7, s7, s6
	s_mul_hi_u32 s6, s38, s7
	s_mul_i32 s27, s6, s16
	s_sub_i32 s27, s38, s27
	s_add_i32 s7, s6, 1
	s_sub_i32 s29, s27, s16
	s_cmp_ge_u32 s27, s16
	s_cselect_b32 s6, s7, s6
	s_cselect_b32 s27, s29, s27
	s_add_i32 s7, s6, 1
	s_cmp_ge_u32 s27, s16
	s_cselect_b32 s6, s7, s6
	s_mov_b32 s7, s26
.LBB11_50:                              ;   in Loop: Header=BB11_42 Depth=3
	s_mul_i32 s27, s6, s17
	s_mul_hi_u32 s29, s6, s16
	s_add_i32 s27, s29, s27
	s_mul_i32 s7, s7, s16
	s_add_i32 s27, s27, s7
	s_mul_i32 s7, s6, s16
	s_sub_u32 s7, s38, s7
	s_subb_u32 s27, s39, s27
	s_mul_i32 s29, s7, s15
	s_mul_hi_u32 s39, s7, s14
	s_add_i32 s29, s39, s29
	s_mul_i32 s27, s27, s14
	s_add_i32 s41, s29, s27
	s_mul_i32 s40, s7, s14
	s_or_b64 s[42:43], s[40:41], s[16:17]
	s_mov_b32 s27, s43
	s_cmp_lg_u64 s[26:27], 0
	s_cbranch_scc0 .LBB11_84
; %bb.51:                               ;   in Loop: Header=BB11_42 Depth=3
	s_ashr_i32 s42, s17, 31
	s_add_u32 s44, s16, s42
	s_mov_b32 s43, s42
	s_addc_u32 s45, s17, s42
	s_xor_b64 s[44:45], s[44:45], s[42:43]
	v_cvt_f32_u32_e32 v14, s44
	v_cvt_f32_u32_e32 v15, s45
	s_sub_u32 s7, 0, s44
	s_subb_u32 s27, 0, s45
	v_mac_f32_e32 v14, 0x4f800000, v15
	v_rcp_f32_e32 v14, v14
	v_mul_f32_e32 v14, 0x5f7ffffc, v14
	v_mul_f32_e32 v15, 0x2f800000, v14
	v_trunc_f32_e32 v15, v15
	v_mac_f32_e32 v14, 0xcf800000, v15
	v_cvt_u32_f32_e32 v15, v15
	v_cvt_u32_f32_e32 v14, v14
	v_readfirstlane_b32 s29, v15
	v_readfirstlane_b32 s39, v14
	s_mul_i32 s46, s7, s29
	s_mul_hi_u32 s48, s7, s39
	s_mul_i32 s47, s27, s39
	s_add_i32 s46, s48, s46
	s_add_i32 s46, s46, s47
	s_mul_i32 s49, s7, s39
	s_mul_i32 s48, s39, s46
	s_mul_hi_u32 s50, s39, s49
	s_mul_hi_u32 s47, s39, s46
	s_add_u32 s48, s50, s48
	s_addc_u32 s47, 0, s47
	s_mul_hi_u32 s51, s29, s49
	s_mul_i32 s49, s29, s49
	s_add_u32 s48, s48, s49
	s_mul_hi_u32 s50, s29, s46
	s_addc_u32 s47, s47, s51
	s_addc_u32 s48, s50, 0
	s_mul_i32 s46, s29, s46
	s_add_u32 s46, s47, s46
	s_addc_u32 s48, 0, s48
	s_add_u32 s39, s39, s46
	s_cselect_b64 s[46:47], -1, 0
	s_cmp_lg_u64 s[46:47], 0
	s_addc_u32 s29, s29, s48
	s_mul_i32 s46, s7, s29
	s_mul_hi_u32 s47, s7, s39
	s_add_i32 s46, s47, s46
	s_mul_i32 s27, s27, s39
	s_add_i32 s46, s46, s27
	s_mul_i32 s7, s7, s39
	s_mul_hi_u32 s47, s29, s7
	s_mul_i32 s48, s29, s7
	s_mul_i32 s50, s39, s46
	s_mul_hi_u32 s7, s39, s7
	s_mul_hi_u32 s49, s39, s46
	s_add_u32 s7, s7, s50
	s_addc_u32 s49, 0, s49
	s_add_u32 s7, s7, s48
	s_mul_hi_u32 s27, s29, s46
	s_addc_u32 s7, s49, s47
	s_addc_u32 s27, s27, 0
	s_mul_i32 s46, s29, s46
	s_add_u32 s7, s7, s46
	s_addc_u32 s27, 0, s27
	s_add_u32 s7, s39, s7
	s_cselect_b64 s[46:47], -1, 0
	s_cmp_lg_u64 s[46:47], 0
	s_addc_u32 s27, s29, s27
	s_ashr_i32 s46, s41, 31
	s_add_u32 s48, s40, s46
	s_mov_b32 s47, s46
	s_addc_u32 s49, s41, s46
	s_xor_b64 s[48:49], s[48:49], s[46:47]
	s_mul_i32 s39, s48, s27
	s_mul_hi_u32 s41, s48, s7
	s_mul_hi_u32 s29, s48, s27
	s_add_u32 s39, s41, s39
	s_addc_u32 s29, 0, s29
	s_mul_hi_u32 s50, s49, s7
	s_mul_i32 s7, s49, s7
	s_add_u32 s7, s39, s7
	s_mul_hi_u32 s41, s49, s27
	s_addc_u32 s7, s29, s50
	s_addc_u32 s29, s41, 0
	s_mul_i32 s27, s49, s27
	s_add_u32 s7, s7, s27
	s_addc_u32 s27, 0, s29
	s_mul_i32 s29, s44, s27
	s_mul_hi_u32 s39, s44, s7
	s_add_i32 s29, s39, s29
	s_mul_i32 s39, s45, s7
	s_add_i32 s29, s29, s39
	s_sub_i32 s39, s49, s29
	s_mul_i32 s41, s44, s7
	s_sub_u32 s41, s48, s41
	s_cselect_b64 s[50:51], -1, 0
	s_cmp_lg_u64 s[50:51], 0
	s_subb_u32 s39, s39, s45
	s_sub_u32 s48, s41, s44
	s_cselect_b64 s[52:53], -1, 0
	s_cmp_lg_u64 s[52:53], 0
	s_subb_u32 s39, s39, 0
	s_cmp_ge_u32 s39, s45
	s_cselect_b32 s52, -1, 0
	s_cmp_ge_u32 s48, s44
	s_cselect_b32 s48, -1, 0
	s_cmp_eq_u32 s39, s45
	s_cselect_b32 s39, s48, s52
	s_add_u32 s48, s7, 1
	s_addc_u32 s52, s27, 0
	s_add_u32 s53, s7, 2
	s_addc_u32 s68, s27, 0
	s_cmp_lg_u32 s39, 0
	s_cselect_b32 s39, s53, s48
	s_cselect_b32 s48, s68, s52
	s_cmp_lg_u64 s[50:51], 0
	s_subb_u32 s29, s49, s29
	s_cmp_ge_u32 s29, s45
	s_cselect_b32 s49, -1, 0
	s_cmp_ge_u32 s41, s44
	s_cselect_b32 s41, -1, 0
	s_cmp_eq_u32 s29, s45
	s_cselect_b32 s29, s41, s49
	s_cmp_lg_u32 s29, 0
	s_cselect_b32 s45, s48, s27
	s_cselect_b32 s44, s39, s7
	s_xor_b64 s[42:43], s[46:47], s[42:43]
	s_xor_b64 s[44:45], s[44:45], s[42:43]
	s_sub_u32 s42, s44, s42
	s_subb_u32 s43, s45, s43
	v_mov_b32_e32 v14, s42
	v_mov_b32_e32 v15, s43
	s_cbranch_execnz .LBB11_53
.LBB11_52:                              ;   in Loop: Header=BB11_42 Depth=3
	v_mul_f32_e32 v2, 0x4f7ffffe, v2
	v_cvt_u32_f32_e32 v2, v2
	s_sub_i32 s7, 0, s16
	v_mul_lo_u32 v14, s7, v2
	v_mul_hi_u32 v14, v2, v14
	v_add_u32_e32 v2, v2, v14
	v_mul_hi_u32 v2, s40, v2
	v_mul_lo_u32 v14, v2, s16
	v_add_u32_e32 v15, 1, v2
	v_sub_u32_e32 v14, s40, v14
	v_subrev_u32_e32 v16, s16, v14
	v_cmp_le_u32_e32 vcc, s16, v14
	v_cndmask_b32_e32 v14, v14, v16, vcc
	v_cndmask_b32_e32 v2, v2, v15, vcc
	v_add_u32_e32 v15, 1, v2
	v_cmp_le_u32_e32 vcc, s16, v14
	v_cndmask_b32_e32 v14, v2, v15, vcc
.LBB11_53:                              ;   in Loop: Header=BB11_42 Depth=3
	s_and_saveexec_b64 s[40:41], s[2:3]
	s_cbranch_execz .LBB11_41
; %bb.54:                               ;   in Loop: Header=BB11_42 Depth=3
	s_mul_i32 s6, s6, s14
	v_add_u32_e32 v2, s6, v14
	v_sub_u32_e32 v2, v13, v2
	v_add_u32_e32 v36, 1, v2
	s_mov_b64 s[42:43], 0
	v_mov_b32_e32 v13, v12
	v_mov_b32_e32 v37, v3
	s_branch .LBB11_56
.LBB11_55:                              ;   in Loop: Header=BB11_56 Depth=4
	s_or_b64 exec, exec, s[44:45]
	v_add_u32_e32 v37, 1, v37
	v_cmp_ge_i32_e32 vcc, v37, v32
	s_or_b64 s[42:43], vcc, s[42:43]
	v_add_u32_e32 v13, s13, v13
	s_andn2_b64 exec, exec, s[42:43]
	s_cbranch_execz .LBB11_41
.LBB11_56:                              ;   Parent Loop BB11_12 Depth=1
                                        ;     Parent Loop BB11_27 Depth=2
                                        ;       Parent Loop BB11_42 Depth=3
                                        ; =>      This Loop Header: Depth=4
                                        ;           Child Loop BB11_71 Depth 5
	s_and_saveexec_b64 s[44:45], s[4:5]
	s_cbranch_execz .LBB11_55
; %bb.57:                               ;   in Loop: Header=BB11_56 Depth=4
	v_ashrrev_i32_e32 v14, 31, v37
	v_add_co_u32_e32 v2, vcc, 1, v37
	v_addc_co_u32_e32 v15, vcc, 0, v14, vcc
	v_mul_lo_u32 v16, v2, s54
	v_mul_lo_u32 v15, v15, s55
	v_mad_u64_u32 v[17:18], s[6:7], v2, s55, -1
	v_add3_u32 v18, v15, v18, v16
	v_or_b32_e32 v2, s60, v18
	v_cmp_ne_u64_e32 vcc, 0, v[1:2]
                                        ; implicit-def: $vgpr15_vgpr16
	s_and_saveexec_b64 s[6:7], vcc
	s_xor_b64 s[46:47], exec, s[6:7]
	s_cbranch_execz .LBB11_59
; %bb.58:                               ;   in Loop: Header=BB11_56 Depth=4
	s_ashr_i32 s48, s60, 31
	s_add_u32 s6, s65, s48
	s_mov_b32 s49, s48
	s_addc_u32 s7, s60, s48
	s_xor_b64 s[50:51], s[6:7], s[48:49]
	v_cvt_f32_u32_e32 v2, s50
	v_cvt_f32_u32_e32 v15, s51
	s_sub_u32 s27, 0, s50
	s_subb_u32 s29, 0, s51
	v_mac_f32_e32 v2, 0x4f800000, v15
	v_rcp_f32_e32 v2, v2
	v_mul_f32_e32 v2, 0x5f7ffffc, v2
	v_mul_f32_e32 v15, 0x2f800000, v2
	v_trunc_f32_e32 v15, v15
	v_mac_f32_e32 v2, 0xcf800000, v15
	v_cvt_u32_f32_e32 v15, v15
	v_cvt_u32_f32_e32 v2, v2
	v_readfirstlane_b32 s39, v15
	v_readfirstlane_b32 s6, v2
	s_mul_i32 s7, s27, s39
	s_mul_hi_u32 s52, s27, s6
	s_mul_i32 s49, s29, s6
	s_add_i32 s7, s52, s7
	s_add_i32 s7, s7, s49
	s_mul_i32 s53, s27, s6
	s_mul_i32 s52, s6, s7
	s_mul_hi_u32 s68, s6, s53
	s_mul_hi_u32 s49, s6, s7
	s_add_u32 s52, s68, s52
	s_addc_u32 s49, 0, s49
	s_mul_hi_u32 s69, s39, s53
	s_mul_i32 s53, s39, s53
	s_add_u32 s52, s52, s53
	s_mul_hi_u32 s68, s39, s7
	s_addc_u32 s49, s49, s69
	s_addc_u32 s52, s68, 0
	s_mul_i32 s7, s39, s7
	s_add_u32 s7, s49, s7
	s_addc_u32 s49, 0, s52
	s_add_u32 s52, s6, s7
	s_cselect_b64 s[6:7], -1, 0
	s_cmp_lg_u64 s[6:7], 0
	s_addc_u32 s39, s39, s49
	s_mul_i32 s6, s27, s39
	s_mul_hi_u32 s7, s27, s52
	s_add_i32 s6, s7, s6
	s_mul_i32 s29, s29, s52
	s_add_i32 s6, s6, s29
	s_mul_i32 s27, s27, s52
	s_mul_hi_u32 s29, s39, s27
	s_mul_i32 s49, s39, s27
	s_mul_i32 s68, s52, s6
	s_mul_hi_u32 s27, s52, s27
	s_mul_hi_u32 s53, s52, s6
	s_add_u32 s27, s27, s68
	s_addc_u32 s53, 0, s53
	s_add_u32 s27, s27, s49
	s_mul_hi_u32 s7, s39, s6
	s_addc_u32 s27, s53, s29
	s_addc_u32 s7, s7, 0
	s_mul_i32 s6, s39, s6
	s_add_u32 s6, s27, s6
	s_addc_u32 s27, 0, s7
	s_add_u32 s29, s52, s6
	s_cselect_b64 s[6:7], -1, 0
	v_ashrrev_i32_e32 v2, 31, v18
	s_cmp_lg_u64 s[6:7], 0
	v_add_co_u32_e32 v15, vcc, v17, v2
	s_addc_u32 s27, s39, s27
	v_xor_b32_e32 v19, v15, v2
	v_addc_co_u32_e32 v17, vcc, v18, v2, vcc
	v_mad_u64_u32 v[15:16], s[6:7], v19, s27, 0
	v_mul_hi_u32 v18, v19, s29
	v_xor_b32_e32 v20, v17, v2
	v_xor_b32_e32 v2, s48, v2
	v_add_co_u32_e32 v21, vcc, v18, v15
	v_addc_co_u32_e32 v22, vcc, 0, v16, vcc
	v_mad_u64_u32 v[15:16], s[6:7], v20, s29, 0
	v_mad_u64_u32 v[17:18], s[6:7], v20, s27, 0
	v_add_co_u32_e32 v15, vcc, v21, v15
	v_addc_co_u32_e32 v15, vcc, v22, v16, vcc
	v_addc_co_u32_e32 v16, vcc, 0, v18, vcc
	v_add_co_u32_e32 v17, vcc, v15, v17
	v_addc_co_u32_e32 v15, vcc, 0, v16, vcc
	v_mul_lo_u32 v18, s51, v17
	v_mul_lo_u32 v21, s50, v15
	v_mad_u64_u32 v[15:16], s[6:7], s50, v17, 0
	v_add3_u32 v16, v16, v21, v18
	v_sub_u32_e32 v18, v20, v16
	v_mov_b32_e32 v21, s51
	v_sub_co_u32_e32 v15, vcc, v19, v15
	v_subb_co_u32_e64 v18, s[6:7], v18, v21, vcc
	v_subrev_co_u32_e64 v19, s[6:7], s50, v15
	v_subbrev_co_u32_e64 v18, s[6:7], 0, v18, s[6:7]
	v_cmp_le_u32_e64 s[6:7], s51, v18
	v_subb_co_u32_e32 v16, vcc, v20, v16, vcc
	v_cndmask_b32_e64 v21, 0, -1, s[6:7]
	v_cmp_le_u32_e64 s[6:7], s50, v19
	v_cmp_le_u32_e32 vcc, s51, v16
	v_cndmask_b32_e64 v19, 0, -1, s[6:7]
	v_cmp_eq_u32_e64 s[6:7], s51, v18
	v_cndmask_b32_e64 v20, 0, -1, vcc
	v_cmp_le_u32_e32 vcc, s50, v15
	v_cndmask_b32_e64 v18, v21, v19, s[6:7]
	v_cndmask_b32_e64 v15, 0, -1, vcc
	v_cmp_eq_u32_e32 vcc, s51, v16
	v_add_co_u32_e64 v19, s[6:7], 2, v17
	v_add_co_u32_e64 v21, s[6:7], 1, v17
	v_cndmask_b32_e32 v15, v20, v15, vcc
	v_cmp_ne_u32_e32 vcc, 0, v18
	v_cndmask_b32_e32 v16, v21, v19, vcc
	v_cmp_ne_u32_e32 vcc, 0, v15
	v_cndmask_b32_e32 v15, v17, v16, vcc
	v_xor_b32_e32 v15, v15, v2
	v_sub_co_u32_e32 v15, vcc, v15, v2
                                        ; implicit-def: $vgpr17_vgpr18
.LBB11_59:                              ;   in Loop: Header=BB11_56 Depth=4
	s_or_saveexec_b64 s[6:7], s[46:47]
	v_cvt_f32_u32_e32 v2, s65
	v_rcp_iflag_f32_e32 v21, v2
	s_xor_b64 exec, exec, s[6:7]
	s_cbranch_execz .LBB11_61
; %bb.60:                               ;   in Loop: Header=BB11_56 Depth=4
	v_mul_f32_e32 v2, 0x4f7ffffe, v21
	v_cvt_u32_f32_e32 v2, v2
	s_sub_i32 s27, 0, s65
	v_mul_lo_u32 v15, s27, v2
	v_mul_hi_u32 v15, v2, v15
	v_add_u32_e32 v2, v2, v15
	v_mul_hi_u32 v2, v17, v2
	v_mul_lo_u32 v15, v2, s65
	v_add_u32_e32 v16, 1, v2
	v_sub_u32_e32 v15, v17, v15
	v_subrev_u32_e32 v17, s65, v15
	v_cmp_le_u32_e32 vcc, s65, v15
	v_cndmask_b32_e32 v15, v15, v17, vcc
	v_cndmask_b32_e32 v2, v2, v16, vcc
	v_add_u32_e32 v16, 1, v2
	v_cmp_le_u32_e32 vcc, s65, v15
	v_cndmask_b32_e32 v15, v2, v16, vcc
.LBB11_61:                              ;   in Loop: Header=BB11_56 Depth=4
	s_or_b64 exec, exec, s[6:7]
	v_or_b32_e32 v2, s60, v14
	v_cmp_ne_u64_e32 vcc, 0, v[1:2]
                                        ; implicit-def: $vgpr16_vgpr17
	s_and_saveexec_b64 s[6:7], vcc
	s_xor_b64 s[46:47], exec, s[6:7]
	s_cbranch_execz .LBB11_63
; %bb.62:                               ;   in Loop: Header=BB11_56 Depth=4
	s_ashr_i32 s48, s60, 31
	s_add_u32 s6, s65, s48
	s_mov_b32 s49, s48
	s_addc_u32 s7, s60, s48
	s_xor_b64 s[50:51], s[6:7], s[48:49]
	v_cvt_f32_u32_e32 v2, s50
	v_cvt_f32_u32_e32 v16, s51
	s_sub_u32 s27, 0, s50
	s_subb_u32 s29, 0, s51
	v_mac_f32_e32 v2, 0x4f800000, v16
	v_rcp_f32_e32 v2, v2
	v_mul_f32_e32 v2, 0x5f7ffffc, v2
	v_mul_f32_e32 v16, 0x2f800000, v2
	v_trunc_f32_e32 v16, v16
	v_mac_f32_e32 v2, 0xcf800000, v16
	v_cvt_u32_f32_e32 v16, v16
	v_cvt_u32_f32_e32 v2, v2
	v_readfirstlane_b32 s39, v16
	v_readfirstlane_b32 s6, v2
	s_mul_i32 s7, s27, s39
	s_mul_hi_u32 s52, s27, s6
	s_mul_i32 s49, s29, s6
	s_add_i32 s7, s52, s7
	s_add_i32 s7, s7, s49
	s_mul_i32 s53, s27, s6
	s_mul_i32 s52, s6, s7
	s_mul_hi_u32 s68, s6, s53
	s_mul_hi_u32 s49, s6, s7
	s_add_u32 s52, s68, s52
	s_addc_u32 s49, 0, s49
	s_mul_hi_u32 s69, s39, s53
	s_mul_i32 s53, s39, s53
	s_add_u32 s52, s52, s53
	s_mul_hi_u32 s68, s39, s7
	s_addc_u32 s49, s49, s69
	s_addc_u32 s52, s68, 0
	s_mul_i32 s7, s39, s7
	s_add_u32 s7, s49, s7
	s_addc_u32 s49, 0, s52
	s_add_u32 s52, s6, s7
	s_cselect_b64 s[6:7], -1, 0
	s_cmp_lg_u64 s[6:7], 0
	s_addc_u32 s39, s39, s49
	s_mul_i32 s6, s27, s39
	s_mul_hi_u32 s7, s27, s52
	s_add_i32 s6, s7, s6
	s_mul_i32 s29, s29, s52
	s_add_i32 s6, s6, s29
	s_mul_i32 s27, s27, s52
	s_mul_hi_u32 s29, s39, s27
	s_mul_i32 s49, s39, s27
	s_mul_i32 s68, s52, s6
	s_mul_hi_u32 s27, s52, s27
	s_mul_hi_u32 s53, s52, s6
	s_add_u32 s27, s27, s68
	s_addc_u32 s53, 0, s53
	s_add_u32 s27, s27, s49
	s_mul_hi_u32 s7, s39, s6
	s_addc_u32 s27, s53, s29
	s_addc_u32 s7, s7, 0
	s_mul_i32 s6, s39, s6
	s_add_u32 s6, s27, s6
	s_addc_u32 s27, 0, s7
	s_add_u32 s29, s52, s6
	s_cselect_b64 s[6:7], -1, 0
	v_ashrrev_i32_e32 v2, 31, v14
	s_cmp_lg_u64 s[6:7], 0
	v_add_co_u32_e32 v16, vcc, v37, v2
	s_addc_u32 s27, s39, s27
	v_xor_b32_e32 v20, v16, v2
	v_mad_u64_u32 v[16:17], s[6:7], v20, s27, 0
	v_mul_hi_u32 v19, v20, s29
	v_addc_co_u32_e32 v18, vcc, v14, v2, vcc
	v_xor_b32_e32 v22, v18, v2
	v_add_co_u32_e32 v23, vcc, v19, v16
	v_addc_co_u32_e32 v24, vcc, 0, v17, vcc
	v_mad_u64_u32 v[16:17], s[6:7], v22, s29, 0
	v_mad_u64_u32 v[18:19], s[6:7], v22, s27, 0
	v_add_co_u32_e32 v16, vcc, v23, v16
	v_addc_co_u32_e32 v16, vcc, v24, v17, vcc
	v_addc_co_u32_e32 v17, vcc, 0, v19, vcc
	v_add_co_u32_e32 v18, vcc, v16, v18
	v_addc_co_u32_e32 v19, vcc, 0, v17, vcc
	v_mul_lo_u32 v23, s51, v18
	v_mul_lo_u32 v24, s50, v19
	v_mad_u64_u32 v[16:17], s[6:7], s50, v18, 0
	v_xor_b32_e32 v2, s48, v2
	v_add3_u32 v17, v17, v24, v23
	v_sub_u32_e32 v23, v22, v17
	v_mov_b32_e32 v24, s51
	v_sub_co_u32_e32 v16, vcc, v20, v16
	v_subb_co_u32_e64 v20, s[6:7], v23, v24, vcc
	v_subrev_co_u32_e64 v23, s[6:7], s50, v16
	v_subbrev_co_u32_e64 v20, s[6:7], 0, v20, s[6:7]
	v_cmp_le_u32_e64 s[6:7], s51, v20
	v_cndmask_b32_e64 v24, 0, -1, s[6:7]
	v_cmp_le_u32_e64 s[6:7], s50, v23
	v_cndmask_b32_e64 v23, 0, -1, s[6:7]
	v_cmp_eq_u32_e64 s[6:7], s51, v20
	v_cndmask_b32_e64 v20, v24, v23, s[6:7]
	v_add_co_u32_e64 v23, s[6:7], 2, v18
	v_subb_co_u32_e32 v17, vcc, v22, v17, vcc
	v_addc_co_u32_e64 v24, s[6:7], 0, v19, s[6:7]
	v_cmp_le_u32_e32 vcc, s51, v17
	v_add_co_u32_e64 v25, s[6:7], 1, v18
	v_cndmask_b32_e64 v22, 0, -1, vcc
	v_cmp_le_u32_e32 vcc, s50, v16
	v_addc_co_u32_e64 v26, s[6:7], 0, v19, s[6:7]
	v_cndmask_b32_e64 v16, 0, -1, vcc
	v_cmp_eq_u32_e32 vcc, s51, v17
	v_cmp_ne_u32_e64 s[6:7], 0, v20
	v_cndmask_b32_e32 v16, v22, v16, vcc
	v_cndmask_b32_e64 v20, v26, v24, s[6:7]
	v_cmp_ne_u32_e32 vcc, 0, v16
	v_cndmask_b32_e64 v17, v25, v23, s[6:7]
	v_cndmask_b32_e32 v16, v19, v20, vcc
	v_cndmask_b32_e32 v17, v18, v17, vcc
	v_xor_b32_e32 v18, v16, v2
	v_xor_b32_e32 v16, v17, v2
	v_sub_co_u32_e32 v16, vcc, v16, v2
	v_subb_co_u32_e32 v17, vcc, v18, v2, vcc
.LBB11_63:                              ;   in Loop: Header=BB11_56 Depth=4
	s_andn2_saveexec_b64 s[6:7], s[46:47]
	s_cbranch_execz .LBB11_65
; %bb.64:                               ;   in Loop: Header=BB11_56 Depth=4
	v_mul_f32_e32 v2, 0x4f7ffffe, v21
	v_cvt_u32_f32_e32 v2, v2
	s_sub_i32 s27, 0, s65
	v_mul_lo_u32 v16, s27, v2
	v_mul_hi_u32 v16, v2, v16
	v_add_u32_e32 v2, v2, v16
	v_mul_hi_u32 v2, v37, v2
	v_mul_lo_u32 v16, v2, s65
	v_add_u32_e32 v17, 1, v2
	v_sub_u32_e32 v16, v37, v16
	v_subrev_u32_e32 v18, s65, v16
	v_cmp_le_u32_e32 vcc, s65, v16
	v_cndmask_b32_e32 v16, v16, v18, vcc
	v_cndmask_b32_e32 v2, v2, v17, vcc
	v_add_u32_e32 v17, 1, v2
	v_cmp_le_u32_e32 vcc, s65, v16
	v_cndmask_b32_e32 v16, v2, v17, vcc
	v_mov_b32_e32 v17, v1
.LBB11_65:                              ;   in Loop: Header=BB11_56 Depth=4
	s_or_b64 exec, exec, s[6:7]
	v_mul_lo_u32 v2, v17, s65
	v_mul_lo_u32 v19, v16, s60
	v_mad_u64_u32 v[17:18], s[6:7], v16, s65, 0
	v_add3_u32 v2, v18, v19, v2
	v_sub_co_u32_e32 v17, vcc, v37, v17
	v_subb_co_u32_e32 v2, vcc, v14, v2, vcc
	v_mul_lo_u32 v2, v2, s55
	v_mul_lo_u32 v14, v17, s54
	v_mad_u64_u32 v[17:18], s[6:7], v17, s55, 0
                                        ; implicit-def: $vgpr19_vgpr20
	v_add3_u32 v18, v18, v14, v2
	v_or_b32_e32 v2, s60, v18
	v_cmp_ne_u64_e32 vcc, 0, v[1:2]
	s_and_saveexec_b64 s[6:7], vcc
	s_xor_b64 s[46:47], exec, s[6:7]
	s_cbranch_execz .LBB11_67
; %bb.66:                               ;   in Loop: Header=BB11_56 Depth=4
	s_ashr_i32 s48, s60, 31
	s_add_u32 s6, s65, s48
	s_mov_b32 s49, s48
	s_addc_u32 s7, s60, s48
	s_xor_b64 s[50:51], s[6:7], s[48:49]
	v_cvt_f32_u32_e32 v2, s50
	v_cvt_f32_u32_e32 v14, s51
	s_sub_u32 s27, 0, s50
	s_subb_u32 s29, 0, s51
	v_mac_f32_e32 v2, 0x4f800000, v14
	v_rcp_f32_e32 v2, v2
	v_mul_f32_e32 v2, 0x5f7ffffc, v2
	v_mul_f32_e32 v14, 0x2f800000, v2
	v_trunc_f32_e32 v14, v14
	v_mac_f32_e32 v2, 0xcf800000, v14
	v_cvt_u32_f32_e32 v14, v14
	v_cvt_u32_f32_e32 v2, v2
	v_readfirstlane_b32 s39, v14
	v_readfirstlane_b32 s6, v2
	s_mul_i32 s7, s27, s39
	s_mul_hi_u32 s52, s27, s6
	s_mul_i32 s49, s29, s6
	s_add_i32 s7, s52, s7
	s_add_i32 s7, s7, s49
	s_mul_i32 s53, s27, s6
	s_mul_i32 s52, s6, s7
	s_mul_hi_u32 s68, s6, s53
	s_mul_hi_u32 s49, s6, s7
	s_add_u32 s52, s68, s52
	s_addc_u32 s49, 0, s49
	s_mul_hi_u32 s69, s39, s53
	s_mul_i32 s53, s39, s53
	s_add_u32 s52, s52, s53
	s_mul_hi_u32 s68, s39, s7
	s_addc_u32 s49, s49, s69
	s_addc_u32 s52, s68, 0
	s_mul_i32 s7, s39, s7
	s_add_u32 s7, s49, s7
	s_addc_u32 s49, 0, s52
	s_add_u32 s52, s6, s7
	s_cselect_b64 s[6:7], -1, 0
	s_cmp_lg_u64 s[6:7], 0
	s_addc_u32 s39, s39, s49
	s_mul_i32 s6, s27, s39
	s_mul_hi_u32 s7, s27, s52
	s_add_i32 s6, s7, s6
	s_mul_i32 s29, s29, s52
	s_add_i32 s6, s6, s29
	s_mul_i32 s27, s27, s52
	s_mul_hi_u32 s29, s39, s27
	s_mul_i32 s49, s39, s27
	s_mul_i32 s68, s52, s6
	s_mul_hi_u32 s27, s52, s27
	s_mul_hi_u32 s53, s52, s6
	s_add_u32 s27, s27, s68
	s_addc_u32 s53, 0, s53
	s_add_u32 s27, s27, s49
	s_mul_hi_u32 s7, s39, s6
	s_addc_u32 s27, s53, s29
	s_addc_u32 s7, s7, 0
	s_mul_i32 s6, s39, s6
	s_add_u32 s6, s27, s6
	s_addc_u32 s27, 0, s7
	s_add_u32 s29, s52, s6
	s_cselect_b64 s[6:7], -1, 0
	v_ashrrev_i32_e32 v2, 31, v18
	s_cmp_lg_u64 s[6:7], 0
	v_add_co_u32_e32 v14, vcc, v17, v2
	s_addc_u32 s27, s39, s27
	v_xor_b32_e32 v14, v14, v2
	v_addc_co_u32_e32 v19, vcc, v18, v2, vcc
	v_mad_u64_u32 v[17:18], s[6:7], v14, s27, 0
	v_mul_hi_u32 v20, v14, s29
	v_xor_b32_e32 v21, v19, v2
	v_xor_b32_e32 v2, s48, v2
	v_add_co_u32_e32 v22, vcc, v20, v17
	v_addc_co_u32_e32 v23, vcc, 0, v18, vcc
	v_mad_u64_u32 v[17:18], s[6:7], v21, s29, 0
	v_mad_u64_u32 v[19:20], s[6:7], v21, s27, 0
	v_add_co_u32_e32 v17, vcc, v22, v17
	v_addc_co_u32_e32 v17, vcc, v23, v18, vcc
	v_addc_co_u32_e32 v18, vcc, 0, v20, vcc
	v_add_co_u32_e32 v19, vcc, v17, v19
	v_addc_co_u32_e32 v17, vcc, 0, v18, vcc
	v_mul_lo_u32 v20, s51, v19
	v_mul_lo_u32 v22, s50, v17
	v_mad_u64_u32 v[17:18], s[6:7], s50, v19, 0
	v_add3_u32 v18, v18, v22, v20
	v_sub_u32_e32 v20, v21, v18
	v_mov_b32_e32 v22, s51
	v_sub_co_u32_e32 v14, vcc, v14, v17
	v_subb_co_u32_e64 v17, s[6:7], v20, v22, vcc
	v_subrev_co_u32_e64 v20, s[6:7], s50, v14
	v_subbrev_co_u32_e64 v17, s[6:7], 0, v17, s[6:7]
	v_cmp_le_u32_e64 s[6:7], s51, v17
	v_subb_co_u32_e32 v18, vcc, v21, v18, vcc
	v_cndmask_b32_e64 v22, 0, -1, s[6:7]
	v_cmp_le_u32_e64 s[6:7], s50, v20
	v_cmp_le_u32_e32 vcc, s51, v18
	v_cndmask_b32_e64 v20, 0, -1, s[6:7]
	v_cmp_eq_u32_e64 s[6:7], s51, v17
	v_cndmask_b32_e64 v21, 0, -1, vcc
	v_cmp_le_u32_e32 vcc, s50, v14
	v_cndmask_b32_e64 v17, v22, v20, s[6:7]
	v_cndmask_b32_e64 v14, 0, -1, vcc
	v_cmp_eq_u32_e32 vcc, s51, v18
	v_add_co_u32_e64 v20, s[6:7], 2, v19
	v_add_co_u32_e64 v22, s[6:7], 1, v19
	v_cndmask_b32_e32 v14, v21, v14, vcc
	v_cmp_ne_u32_e32 vcc, 0, v17
	v_cndmask_b32_e32 v17, v22, v20, vcc
	v_cmp_ne_u32_e32 vcc, 0, v14
	v_cndmask_b32_e32 v14, v19, v17, vcc
	v_xor_b32_e32 v14, v14, v2
	v_sub_co_u32_e32 v19, vcc, v14, v2
                                        ; implicit-def: $vgpr21
                                        ; implicit-def: $vgpr17_vgpr18
.LBB11_67:                              ;   in Loop: Header=BB11_56 Depth=4
	s_andn2_saveexec_b64 s[6:7], s[46:47]
	s_cbranch_execz .LBB11_69
; %bb.68:                               ;   in Loop: Header=BB11_56 Depth=4
	v_mul_f32_e32 v2, 0x4f7ffffe, v21
	v_cvt_u32_f32_e32 v2, v2
	s_sub_i32 s27, 0, s65
	v_mul_lo_u32 v14, s27, v2
	v_mul_hi_u32 v14, v2, v14
	v_add_u32_e32 v2, v2, v14
	v_mul_hi_u32 v2, v17, v2
	v_mul_lo_u32 v14, v2, s65
	v_add_u32_e32 v18, 1, v2
	v_sub_u32_e32 v14, v17, v14
	v_subrev_u32_e32 v17, s65, v14
	v_cmp_le_u32_e32 vcc, s65, v14
	v_cndmask_b32_e32 v14, v14, v17, vcc
	v_cndmask_b32_e32 v2, v2, v18, vcc
	v_add_u32_e32 v17, 1, v2
	v_cmp_le_u32_e32 vcc, s65, v14
	v_cndmask_b32_e32 v19, v2, v17, vcc
.LBB11_69:                              ;   in Loop: Header=BB11_56 Depth=4
	s_or_b64 exec, exec, s[6:7]
	global_load_ushort v38, v[8:9], off
	v_mad_u64_u32 v[16:17], s[6:7], v16, s55, v[19:20]
	v_ashrrev_i32_e32 v14, 31, v13
	v_lshlrev_b64 v[17:18], 1, v[13:14]
	v_sub_u32_e32 v14, v15, v16
	v_mul_lo_u32 v16, v36, v14
	v_mov_b32_e32 v2, s37
	v_add_co_u32_e32 v14, vcc, s36, v17
	v_addc_co_u32_e32 v15, vcc, v2, v18, vcc
	v_mov_b32_e32 v18, v11
	v_mov_b32_e32 v20, v7
	v_add_u32_e32 v16, v16, v36
	s_mov_b64 s[46:47], 0
	v_mov_b32_e32 v17, v10
	v_mov_b32_e32 v19, v6
	s_branch .LBB11_71
.LBB11_70:                              ;   in Loop: Header=BB11_71 Depth=5
	s_or_b64 exec, exec, s[6:7]
	global_load_ushort v2, v[14:15], off
	v_mad_u64_u32 v[22:23], s[6:7], v22, s57, v[25:26]
	v_sub_u32_e32 v21, v21, v22
	v_mad_u64_u32 v[21:22], s[6:7], v16, v21, v[16:17]
	v_cvt_f32_i32_e32 v21, v21
	s_waitcnt vmcnt(0)
	v_lshlrev_b32_e32 v2, 16, v2
	v_div_scale_f32 v22, s[6:7], v21, v21, v2
	v_div_scale_f32 v23, vcc, v2, v21, v2
	v_rcp_f32_e32 v24, v22
	v_fma_f32 v25, -v22, v24, 1.0
	v_fmac_f32_e32 v24, v25, v24
	v_mul_f32_e32 v25, v23, v24
	v_fma_f32 v26, -v22, v25, v23
	v_fmac_f32_e32 v25, v26, v24
	v_fma_f32 v22, -v22, v25, v23
	v_div_fmas_f32 v22, v22, v24, v25
	v_add_co_u32_e32 v19, vcc, 1, v19
	v_addc_co_u32_e32 v20, vcc, 0, v20, vcc
	v_add_co_u32_e32 v14, vcc, 2, v14
	v_addc_co_u32_e32 v15, vcc, 0, v15, vcc
	v_cmp_ge_i32_e32 vcc, v19, v35
	s_or_b64 s[46:47], vcc, s[46:47]
	v_lshlrev_b32_e32 v23, 16, v38
	v_mov_b32_e32 v24, s56
	v_div_fixup_f32 v2, v22, v21, v2
	v_bfe_u32 v21, v2, 16, 1
	v_add3_u32 v21, v2, v21, s67
	v_and_b32_e32 v21, 0xffff0000, v21
	v_cmp_o_f32_e32 vcc, v2, v2
	v_cndmask_b32_e32 v2, v30, v21, vcc
	v_add_f32_e32 v2, v2, v23
	v_bfe_u32 v21, v2, 16, 1
	v_add3_u32 v21, v2, v21, s67
	v_lshrrev_b32_e32 v21, 16, v21
	v_cmp_o_f32_e32 vcc, v2, v2
	v_cndmask_b32_e32 v38, v31, v21, vcc
	v_add_co_u32_e32 v17, vcc, s57, v17
	v_addc_co_u32_e32 v18, vcc, v18, v24, vcc
	global_store_short v[8:9], v38, off
	s_andn2_b64 exec, exec, s[46:47]
	s_cbranch_execz .LBB11_55
.LBB11_71:                              ;   Parent Loop BB11_12 Depth=1
                                        ;     Parent Loop BB11_27 Depth=2
                                        ;       Parent Loop BB11_42 Depth=3
                                        ;         Parent Loop BB11_56 Depth=4
                                        ; =>        This Inner Loop Header: Depth=5
	v_or_b32_e32 v2, s61, v18
	v_cmp_ne_u64_e32 vcc, 0, v[1:2]
                                        ; implicit-def: $vgpr21_vgpr22
	s_and_saveexec_b64 s[6:7], vcc
	s_xor_b64 s[48:49], exec, s[6:7]
	s_cbranch_execz .LBB11_73
; %bb.72:                               ;   in Loop: Header=BB11_71 Depth=5
	s_ashr_i32 s50, s61, 31
	s_add_u32 s6, s66, s50
	s_mov_b32 s51, s50
	s_addc_u32 s7, s61, s50
	s_xor_b64 s[52:53], s[6:7], s[50:51]
	v_cvt_f32_u32_e32 v2, s52
	v_cvt_f32_u32_e32 v21, s53
	s_sub_u32 s27, 0, s52
	s_subb_u32 s29, 0, s53
	v_mac_f32_e32 v2, 0x4f800000, v21
	v_rcp_f32_e32 v2, v2
	v_mul_f32_e32 v2, 0x5f7ffffc, v2
	v_mul_f32_e32 v21, 0x2f800000, v2
	v_trunc_f32_e32 v21, v21
	v_mac_f32_e32 v2, 0xcf800000, v21
	v_cvt_u32_f32_e32 v21, v21
	v_cvt_u32_f32_e32 v2, v2
	v_readfirstlane_b32 s39, v21
	v_readfirstlane_b32 s6, v2
	s_mul_i32 s7, s27, s39
	s_mul_hi_u32 s68, s27, s6
	s_mul_i32 s51, s29, s6
	s_add_i32 s7, s68, s7
	s_add_i32 s7, s7, s51
	s_mul_i32 s69, s27, s6
	s_mul_i32 s68, s6, s7
	s_mul_hi_u32 s70, s6, s69
	s_mul_hi_u32 s51, s6, s7
	s_add_u32 s68, s70, s68
	s_addc_u32 s51, 0, s51
	s_mul_hi_u32 s71, s39, s69
	s_mul_i32 s69, s39, s69
	s_add_u32 s68, s68, s69
	s_mul_hi_u32 s70, s39, s7
	s_addc_u32 s51, s51, s71
	s_addc_u32 s68, s70, 0
	s_mul_i32 s7, s39, s7
	s_add_u32 s7, s51, s7
	s_addc_u32 s51, 0, s68
	s_add_u32 s68, s6, s7
	s_cselect_b64 s[6:7], -1, 0
	s_cmp_lg_u64 s[6:7], 0
	s_addc_u32 s39, s39, s51
	s_mul_i32 s6, s27, s39
	s_mul_hi_u32 s7, s27, s68
	s_add_i32 s6, s7, s6
	s_mul_i32 s29, s29, s68
	s_add_i32 s6, s6, s29
	s_mul_i32 s27, s27, s68
	s_mul_hi_u32 s29, s39, s27
	s_mul_i32 s51, s39, s27
	s_mul_i32 s70, s68, s6
	s_mul_hi_u32 s27, s68, s27
	s_mul_hi_u32 s69, s68, s6
	s_add_u32 s27, s27, s70
	s_addc_u32 s69, 0, s69
	s_add_u32 s27, s27, s51
	s_mul_hi_u32 s7, s39, s6
	s_addc_u32 s27, s69, s29
	s_addc_u32 s7, s7, 0
	s_mul_i32 s6, s39, s6
	s_add_u32 s6, s27, s6
	s_addc_u32 s27, 0, s7
	s_add_u32 s29, s68, s6
	s_cselect_b64 s[6:7], -1, 0
	v_ashrrev_i32_e32 v2, 31, v18
	s_cmp_lg_u64 s[6:7], 0
	v_add_co_u32_e32 v21, vcc, v17, v2
	s_addc_u32 s27, s39, s27
	v_xor_b32_e32 v25, v21, v2
	v_mad_u64_u32 v[21:22], s[6:7], v25, s27, 0
	v_mul_hi_u32 v24, v25, s29
	v_addc_co_u32_e32 v23, vcc, v18, v2, vcc
	v_xor_b32_e32 v26, v23, v2
	v_add_co_u32_e32 v39, vcc, v24, v21
	v_addc_co_u32_e32 v40, vcc, 0, v22, vcc
	v_mad_u64_u32 v[21:22], s[6:7], v26, s29, 0
	v_mad_u64_u32 v[23:24], s[6:7], v26, s27, 0
	v_add_co_u32_e32 v21, vcc, v39, v21
	v_addc_co_u32_e32 v21, vcc, v40, v22, vcc
	v_addc_co_u32_e32 v22, vcc, 0, v24, vcc
	v_add_co_u32_e32 v23, vcc, v21, v23
	v_addc_co_u32_e32 v21, vcc, 0, v22, vcc
	v_mul_lo_u32 v24, s53, v23
	v_mul_lo_u32 v39, s52, v21
	v_mad_u64_u32 v[21:22], s[6:7], s52, v23, 0
	v_xor_b32_e32 v2, s50, v2
	v_add3_u32 v22, v22, v39, v24
	v_sub_u32_e32 v24, v26, v22
	v_mov_b32_e32 v39, s53
	v_sub_co_u32_e32 v21, vcc, v25, v21
	v_subb_co_u32_e64 v24, s[6:7], v24, v39, vcc
	v_subrev_co_u32_e64 v25, s[6:7], s52, v21
	v_subbrev_co_u32_e64 v24, s[6:7], 0, v24, s[6:7]
	v_cmp_le_u32_e64 s[6:7], s53, v24
	v_subb_co_u32_e32 v22, vcc, v26, v22, vcc
	v_cndmask_b32_e64 v39, 0, -1, s[6:7]
	v_cmp_le_u32_e64 s[6:7], s52, v25
	v_cmp_le_u32_e32 vcc, s53, v22
	v_cndmask_b32_e64 v25, 0, -1, s[6:7]
	v_cmp_eq_u32_e64 s[6:7], s53, v24
	v_cndmask_b32_e64 v26, 0, -1, vcc
	v_cmp_le_u32_e32 vcc, s52, v21
	v_cndmask_b32_e64 v24, v39, v25, s[6:7]
	v_cndmask_b32_e64 v21, 0, -1, vcc
	v_cmp_eq_u32_e32 vcc, s53, v22
	v_add_co_u32_e64 v25, s[6:7], 2, v23
	v_add_co_u32_e64 v39, s[6:7], 1, v23
	v_cndmask_b32_e32 v21, v26, v21, vcc
	v_cmp_ne_u32_e32 vcc, 0, v24
	v_cndmask_b32_e32 v22, v39, v25, vcc
	v_cmp_ne_u32_e32 vcc, 0, v21
	v_cndmask_b32_e32 v21, v23, v22, vcc
	v_xor_b32_e32 v21, v21, v2
	v_sub_co_u32_e32 v21, vcc, v21, v2
.LBB11_73:                              ;   in Loop: Header=BB11_71 Depth=5
	s_or_saveexec_b64 s[6:7], s[48:49]
	v_cvt_f32_u32_e32 v39, s66
	s_xor_b64 exec, exec, s[6:7]
	s_cbranch_execz .LBB11_75
; %bb.74:                               ;   in Loop: Header=BB11_71 Depth=5
	v_rcp_iflag_f32_e32 v2, v39
	s_sub_i32 s27, 0, s66
	v_mul_f32_e32 v2, 0x4f7ffffe, v2
	v_cvt_u32_f32_e32 v2, v2
	v_mul_lo_u32 v21, s27, v2
	v_mul_hi_u32 v21, v2, v21
	v_add_u32_e32 v2, v2, v21
	v_mul_hi_u32 v2, v17, v2
	v_mul_lo_u32 v21, v2, s66
	v_add_u32_e32 v22, 1, v2
	v_sub_u32_e32 v21, v17, v21
	v_subrev_u32_e32 v23, s66, v21
	v_cmp_le_u32_e32 vcc, s66, v21
	v_cndmask_b32_e32 v21, v21, v23, vcc
	v_cndmask_b32_e32 v2, v2, v22, vcc
	v_add_u32_e32 v22, 1, v2
	v_cmp_le_u32_e32 vcc, s66, v21
	v_cndmask_b32_e32 v21, v2, v22, vcc
.LBB11_75:                              ;   in Loop: Header=BB11_71 Depth=5
	s_or_b64 exec, exec, s[6:7]
	v_or_b32_e32 v2, s61, v20
	v_cmp_ne_u64_e32 vcc, 0, v[1:2]
                                        ; implicit-def: $vgpr22_vgpr23
	s_and_saveexec_b64 s[6:7], vcc
	s_xor_b64 s[48:49], exec, s[6:7]
	s_cbranch_execz .LBB11_77
; %bb.76:                               ;   in Loop: Header=BB11_71 Depth=5
	s_ashr_i32 s50, s61, 31
	s_add_u32 s6, s66, s50
	s_mov_b32 s51, s50
	s_addc_u32 s7, s61, s50
	s_xor_b64 s[52:53], s[6:7], s[50:51]
	v_cvt_f32_u32_e32 v2, s52
	v_cvt_f32_u32_e32 v22, s53
	s_sub_u32 s27, 0, s52
	s_subb_u32 s29, 0, s53
	v_mac_f32_e32 v2, 0x4f800000, v22
	v_rcp_f32_e32 v2, v2
	v_mul_f32_e32 v2, 0x5f7ffffc, v2
	v_mul_f32_e32 v22, 0x2f800000, v2
	v_trunc_f32_e32 v22, v22
	v_mac_f32_e32 v2, 0xcf800000, v22
	v_cvt_u32_f32_e32 v22, v22
	v_cvt_u32_f32_e32 v2, v2
	v_readfirstlane_b32 s39, v22
	v_readfirstlane_b32 s6, v2
	s_mul_i32 s7, s27, s39
	s_mul_hi_u32 s68, s27, s6
	s_mul_i32 s51, s29, s6
	s_add_i32 s7, s68, s7
	s_add_i32 s7, s7, s51
	s_mul_i32 s69, s27, s6
	s_mul_i32 s68, s6, s7
	s_mul_hi_u32 s70, s6, s69
	s_mul_hi_u32 s51, s6, s7
	s_add_u32 s68, s70, s68
	s_addc_u32 s51, 0, s51
	s_mul_hi_u32 s71, s39, s69
	s_mul_i32 s69, s39, s69
	s_add_u32 s68, s68, s69
	s_mul_hi_u32 s70, s39, s7
	s_addc_u32 s51, s51, s71
	s_addc_u32 s68, s70, 0
	s_mul_i32 s7, s39, s7
	s_add_u32 s7, s51, s7
	s_addc_u32 s51, 0, s68
	s_add_u32 s68, s6, s7
	s_cselect_b64 s[6:7], -1, 0
	s_cmp_lg_u64 s[6:7], 0
	s_addc_u32 s39, s39, s51
	s_mul_i32 s6, s27, s39
	s_mul_hi_u32 s7, s27, s68
	s_add_i32 s6, s7, s6
	s_mul_i32 s29, s29, s68
	s_add_i32 s6, s6, s29
	s_mul_i32 s27, s27, s68
	s_mul_hi_u32 s29, s39, s27
	s_mul_i32 s51, s39, s27
	s_mul_i32 s70, s68, s6
	s_mul_hi_u32 s27, s68, s27
	s_mul_hi_u32 s69, s68, s6
	s_add_u32 s27, s27, s70
	s_addc_u32 s69, 0, s69
	s_add_u32 s27, s27, s51
	s_mul_hi_u32 s7, s39, s6
	s_addc_u32 s27, s69, s29
	s_addc_u32 s7, s7, 0
	s_mul_i32 s6, s39, s6
	s_add_u32 s6, s27, s6
	s_addc_u32 s27, 0, s7
	s_add_u32 s29, s68, s6
	s_cselect_b64 s[6:7], -1, 0
	v_ashrrev_i32_e32 v2, 31, v20
	s_cmp_lg_u64 s[6:7], 0
	v_add_co_u32_e32 v22, vcc, v19, v2
	s_addc_u32 s27, s39, s27
	v_xor_b32_e32 v26, v22, v2
	v_mad_u64_u32 v[22:23], s[6:7], v26, s27, 0
	v_mul_hi_u32 v25, v26, s29
	v_addc_co_u32_e32 v24, vcc, v20, v2, vcc
	v_xor_b32_e32 v40, v24, v2
	v_add_co_u32_e32 v41, vcc, v25, v22
	v_addc_co_u32_e32 v42, vcc, 0, v23, vcc
	v_mad_u64_u32 v[22:23], s[6:7], v40, s29, 0
	v_mad_u64_u32 v[24:25], s[6:7], v40, s27, 0
	v_add_co_u32_e32 v22, vcc, v41, v22
	v_addc_co_u32_e32 v22, vcc, v42, v23, vcc
	v_addc_co_u32_e32 v23, vcc, 0, v25, vcc
	v_add_co_u32_e32 v24, vcc, v22, v24
	v_addc_co_u32_e32 v25, vcc, 0, v23, vcc
	v_mul_lo_u32 v41, s53, v24
	v_mul_lo_u32 v42, s52, v25
	v_mad_u64_u32 v[22:23], s[6:7], s52, v24, 0
	v_xor_b32_e32 v2, s50, v2
	v_add3_u32 v23, v23, v42, v41
	v_sub_u32_e32 v41, v40, v23
	v_mov_b32_e32 v42, s53
	v_sub_co_u32_e32 v22, vcc, v26, v22
	v_subb_co_u32_e64 v26, s[6:7], v41, v42, vcc
	v_subrev_co_u32_e64 v41, s[6:7], s52, v22
	v_subbrev_co_u32_e64 v26, s[6:7], 0, v26, s[6:7]
	v_cmp_le_u32_e64 s[6:7], s53, v26
	v_cndmask_b32_e64 v42, 0, -1, s[6:7]
	v_cmp_le_u32_e64 s[6:7], s52, v41
	v_cndmask_b32_e64 v41, 0, -1, s[6:7]
	v_cmp_eq_u32_e64 s[6:7], s53, v26
	v_cndmask_b32_e64 v26, v42, v41, s[6:7]
	v_add_co_u32_e64 v41, s[6:7], 2, v24
	v_subb_co_u32_e32 v23, vcc, v40, v23, vcc
	v_addc_co_u32_e64 v42, s[6:7], 0, v25, s[6:7]
	v_cmp_le_u32_e32 vcc, s53, v23
	v_add_co_u32_e64 v43, s[6:7], 1, v24
	v_cndmask_b32_e64 v40, 0, -1, vcc
	v_cmp_le_u32_e32 vcc, s52, v22
	v_addc_co_u32_e64 v44, s[6:7], 0, v25, s[6:7]
	v_cndmask_b32_e64 v22, 0, -1, vcc
	v_cmp_eq_u32_e32 vcc, s53, v23
	v_cmp_ne_u32_e64 s[6:7], 0, v26
	v_cndmask_b32_e32 v22, v40, v22, vcc
	v_cndmask_b32_e64 v26, v44, v42, s[6:7]
	v_cmp_ne_u32_e32 vcc, 0, v22
	v_cndmask_b32_e64 v23, v43, v41, s[6:7]
	v_cndmask_b32_e32 v22, v25, v26, vcc
	v_cndmask_b32_e32 v23, v24, v23, vcc
	v_xor_b32_e32 v24, v22, v2
	v_xor_b32_e32 v22, v23, v2
	v_sub_co_u32_e32 v22, vcc, v22, v2
	v_subb_co_u32_e32 v23, vcc, v24, v2, vcc
.LBB11_77:                              ;   in Loop: Header=BB11_71 Depth=5
	s_andn2_saveexec_b64 s[6:7], s[48:49]
	s_cbranch_execz .LBB11_79
; %bb.78:                               ;   in Loop: Header=BB11_71 Depth=5
	v_rcp_iflag_f32_e32 v2, v39
	s_sub_i32 s27, 0, s66
	v_mul_f32_e32 v2, 0x4f7ffffe, v2
	v_cvt_u32_f32_e32 v2, v2
	v_mul_lo_u32 v22, s27, v2
	v_mul_hi_u32 v22, v2, v22
	v_add_u32_e32 v2, v2, v22
	v_mul_hi_u32 v2, v19, v2
	v_mul_lo_u32 v22, v2, s66
	v_add_u32_e32 v23, 1, v2
	v_sub_u32_e32 v22, v19, v22
	v_subrev_u32_e32 v24, s66, v22
	v_cmp_le_u32_e32 vcc, s66, v22
	v_cndmask_b32_e32 v22, v22, v24, vcc
	v_cndmask_b32_e32 v2, v2, v23, vcc
	v_add_u32_e32 v23, 1, v2
	v_cmp_le_u32_e32 vcc, s66, v22
	v_cndmask_b32_e32 v22, v2, v23, vcc
	v_mov_b32_e32 v23, v1
.LBB11_79:                              ;   in Loop: Header=BB11_71 Depth=5
	s_or_b64 exec, exec, s[6:7]
	v_mul_lo_u32 v2, v23, s66
	v_mul_lo_u32 v25, v22, s61
	v_mad_u64_u32 v[23:24], s[6:7], v22, s66, 0
	v_add3_u32 v2, v24, v25, v2
	v_sub_co_u32_e32 v23, vcc, v19, v23
	v_subb_co_u32_e32 v2, vcc, v20, v2, vcc
	v_mul_lo_u32 v2, v2, s57
	v_mul_lo_u32 v25, v23, s56
	v_mad_u64_u32 v[23:24], s[6:7], v23, s57, 0
	v_add3_u32 v24, v24, v25, v2
	v_or_b32_e32 v2, s61, v24
	v_cmp_ne_u64_e32 vcc, 0, v[1:2]
                                        ; implicit-def: $vgpr25_vgpr26
	s_and_saveexec_b64 s[6:7], vcc
	s_xor_b64 s[48:49], exec, s[6:7]
	s_cbranch_execz .LBB11_81
; %bb.80:                               ;   in Loop: Header=BB11_71 Depth=5
	s_ashr_i32 s50, s61, 31
	s_add_u32 s6, s66, s50
	s_mov_b32 s51, s50
	s_addc_u32 s7, s61, s50
	s_xor_b64 s[52:53], s[6:7], s[50:51]
	v_cvt_f32_u32_e32 v2, s52
	v_cvt_f32_u32_e32 v25, s53
	s_sub_u32 s27, 0, s52
	s_subb_u32 s29, 0, s53
	v_mac_f32_e32 v2, 0x4f800000, v25
	v_rcp_f32_e32 v2, v2
	v_mul_f32_e32 v2, 0x5f7ffffc, v2
	v_mul_f32_e32 v25, 0x2f800000, v2
	v_trunc_f32_e32 v25, v25
	v_mac_f32_e32 v2, 0xcf800000, v25
	v_cvt_u32_f32_e32 v25, v25
	v_cvt_u32_f32_e32 v2, v2
	v_readfirstlane_b32 s39, v25
	v_readfirstlane_b32 s6, v2
	s_mul_i32 s7, s27, s39
	s_mul_hi_u32 s68, s27, s6
	s_mul_i32 s51, s29, s6
	s_add_i32 s7, s68, s7
	s_add_i32 s7, s7, s51
	s_mul_i32 s69, s27, s6
	s_mul_i32 s68, s6, s7
	s_mul_hi_u32 s70, s6, s69
	s_mul_hi_u32 s51, s6, s7
	s_add_u32 s68, s70, s68
	s_addc_u32 s51, 0, s51
	s_mul_hi_u32 s71, s39, s69
	s_mul_i32 s69, s39, s69
	s_add_u32 s68, s68, s69
	s_mul_hi_u32 s70, s39, s7
	s_addc_u32 s51, s51, s71
	s_addc_u32 s68, s70, 0
	s_mul_i32 s7, s39, s7
	s_add_u32 s7, s51, s7
	s_addc_u32 s51, 0, s68
	s_add_u32 s68, s6, s7
	s_cselect_b64 s[6:7], -1, 0
	s_cmp_lg_u64 s[6:7], 0
	s_addc_u32 s39, s39, s51
	s_mul_i32 s6, s27, s39
	s_mul_hi_u32 s7, s27, s68
	s_add_i32 s6, s7, s6
	s_mul_i32 s29, s29, s68
	s_add_i32 s6, s6, s29
	s_mul_i32 s27, s27, s68
	s_mul_hi_u32 s29, s39, s27
	s_mul_i32 s51, s39, s27
	s_mul_i32 s70, s68, s6
	s_mul_hi_u32 s27, s68, s27
	s_mul_hi_u32 s69, s68, s6
	s_add_u32 s27, s27, s70
	s_addc_u32 s69, 0, s69
	s_add_u32 s27, s27, s51
	s_mul_hi_u32 s7, s39, s6
	s_addc_u32 s27, s69, s29
	s_addc_u32 s7, s7, 0
	s_mul_i32 s6, s39, s6
	s_add_u32 s6, s27, s6
	s_addc_u32 s27, 0, s7
	s_add_u32 s29, s68, s6
	s_cselect_b64 s[6:7], -1, 0
	v_ashrrev_i32_e32 v2, 31, v24
	s_cmp_lg_u64 s[6:7], 0
	v_add_co_u32_e32 v23, vcc, v23, v2
	s_addc_u32 s27, s39, s27
	v_xor_b32_e32 v39, v23, v2
	v_addc_co_u32_e32 v25, vcc, v24, v2, vcc
	v_mad_u64_u32 v[23:24], s[6:7], v39, s27, 0
	v_mul_hi_u32 v26, v39, s29
	v_xor_b32_e32 v40, v25, v2
	v_xor_b32_e32 v2, s50, v2
	v_add_co_u32_e32 v41, vcc, v26, v23
	v_addc_co_u32_e32 v42, vcc, 0, v24, vcc
	v_mad_u64_u32 v[23:24], s[6:7], v40, s29, 0
	v_mad_u64_u32 v[25:26], s[6:7], v40, s27, 0
	v_add_co_u32_e32 v23, vcc, v41, v23
	v_addc_co_u32_e32 v23, vcc, v42, v24, vcc
	v_addc_co_u32_e32 v24, vcc, 0, v26, vcc
	v_add_co_u32_e32 v25, vcc, v23, v25
	v_addc_co_u32_e32 v23, vcc, 0, v24, vcc
	v_mul_lo_u32 v26, s53, v25
	v_mul_lo_u32 v41, s52, v23
	v_mad_u64_u32 v[23:24], s[6:7], s52, v25, 0
	v_add3_u32 v24, v24, v41, v26
	v_sub_u32_e32 v26, v40, v24
	v_mov_b32_e32 v41, s53
	v_sub_co_u32_e32 v23, vcc, v39, v23
	v_subb_co_u32_e64 v26, s[6:7], v26, v41, vcc
	v_subrev_co_u32_e64 v39, s[6:7], s52, v23
	v_subbrev_co_u32_e64 v26, s[6:7], 0, v26, s[6:7]
	v_cmp_le_u32_e64 s[6:7], s53, v26
	v_subb_co_u32_e32 v24, vcc, v40, v24, vcc
	v_cndmask_b32_e64 v41, 0, -1, s[6:7]
	v_cmp_le_u32_e64 s[6:7], s52, v39
	v_cmp_le_u32_e32 vcc, s53, v24
	v_cndmask_b32_e64 v39, 0, -1, s[6:7]
	v_cmp_eq_u32_e64 s[6:7], s53, v26
	v_cndmask_b32_e64 v40, 0, -1, vcc
	v_cmp_le_u32_e32 vcc, s52, v23
	v_cndmask_b32_e64 v26, v41, v39, s[6:7]
	v_cndmask_b32_e64 v23, 0, -1, vcc
	v_cmp_eq_u32_e32 vcc, s53, v24
	v_add_co_u32_e64 v39, s[6:7], 2, v25
	v_add_co_u32_e64 v41, s[6:7], 1, v25
	v_cndmask_b32_e32 v23, v40, v23, vcc
	v_cmp_ne_u32_e32 vcc, 0, v26
	v_cndmask_b32_e32 v24, v41, v39, vcc
	v_cmp_ne_u32_e32 vcc, 0, v23
	v_cndmask_b32_e32 v23, v25, v24, vcc
	v_xor_b32_e32 v23, v23, v2
	v_sub_co_u32_e32 v25, vcc, v23, v2
                                        ; implicit-def: $vgpr39
                                        ; implicit-def: $vgpr23_vgpr24
.LBB11_81:                              ;   in Loop: Header=BB11_71 Depth=5
	s_andn2_saveexec_b64 s[6:7], s[48:49]
	s_cbranch_execz .LBB11_70
; %bb.82:                               ;   in Loop: Header=BB11_71 Depth=5
	v_rcp_iflag_f32_e32 v2, v39
	s_sub_i32 s27, 0, s66
	v_mul_f32_e32 v2, 0x4f7ffffe, v2
	v_cvt_u32_f32_e32 v2, v2
	v_mul_lo_u32 v24, s27, v2
	v_mul_hi_u32 v24, v2, v24
	v_add_u32_e32 v2, v2, v24
	v_mul_hi_u32 v2, v23, v2
	v_mul_lo_u32 v24, v2, s66
	v_add_u32_e32 v25, 1, v2
	v_sub_u32_e32 v23, v23, v24
	v_subrev_u32_e32 v24, s66, v23
	v_cmp_le_u32_e32 vcc, s66, v23
	v_cndmask_b32_e32 v23, v23, v24, vcc
	v_cndmask_b32_e32 v2, v2, v25, vcc
	v_add_u32_e32 v24, 1, v2
	v_cmp_le_u32_e32 vcc, s66, v23
	v_cndmask_b32_e32 v25, v2, v24, vcc
	s_branch .LBB11_70
.LBB11_83:                              ;   in Loop: Header=BB11_42 Depth=3
                                        ; implicit-def: $sgpr6_sgpr7
	s_branch .LBB11_49
.LBB11_84:                              ;   in Loop: Header=BB11_42 Depth=3
                                        ; implicit-def: $sgpr42_sgpr43
	v_mov_b32_e32 v14, s42
	v_mov_b32_e32 v15, s43
	s_branch .LBB11_52
.LBB11_85:
	s_endpgm
.LBB11_86:
                                        ; implicit-def: $sgpr20_sgpr21
	v_cvt_f32_u32_e32 v2, s14
	s_branch .LBB11_2
.LBB11_87:
                                        ; implicit-def: $sgpr0_sgpr1
	s_branch .LBB11_5
.LBB11_88:
                                        ; implicit-def: $sgpr24_sgpr25
	s_load_dword s21, s[4:5], 0x3c
	s_andn2_b64 vcc, exec, s[22:23]
	s_cbranch_vccz .LBB11_8
	s_branch .LBB11_9
	.section	.rodata,"a",@progbits
	.p2align	6, 0x0
	.amdhsa_kernel _ZN2at6native12_GLOBAL__N_124adaptiveaveragegradinputIN3c108BFloat16EfEEvPT_PKS5_iiiiiil
		.amdhsa_group_segment_fixed_size 0
		.amdhsa_private_segment_fixed_size 0
		.amdhsa_kernarg_size 304
		.amdhsa_user_sgpr_count 6
		.amdhsa_user_sgpr_private_segment_buffer 1
		.amdhsa_user_sgpr_dispatch_ptr 0
		.amdhsa_user_sgpr_queue_ptr 0
		.amdhsa_user_sgpr_kernarg_segment_ptr 1
		.amdhsa_user_sgpr_dispatch_id 0
		.amdhsa_user_sgpr_flat_scratch_init 0
		.amdhsa_user_sgpr_private_segment_size 0
		.amdhsa_uses_dynamic_stack 0
		.amdhsa_system_sgpr_private_segment_wavefront_offset 0
		.amdhsa_system_sgpr_workgroup_id_x 1
		.amdhsa_system_sgpr_workgroup_id_y 1
		.amdhsa_system_sgpr_workgroup_id_z 0
		.amdhsa_system_sgpr_workgroup_info 0
		.amdhsa_system_vgpr_workitem_id 1
		.amdhsa_next_free_vgpr 45
		.amdhsa_next_free_sgpr 72
		.amdhsa_reserve_vcc 1
		.amdhsa_reserve_flat_scratch 0
		.amdhsa_float_round_mode_32 0
		.amdhsa_float_round_mode_16_64 0
		.amdhsa_float_denorm_mode_32 3
		.amdhsa_float_denorm_mode_16_64 3
		.amdhsa_dx10_clamp 1
		.amdhsa_ieee_mode 1
		.amdhsa_fp16_overflow 0
		.amdhsa_exception_fp_ieee_invalid_op 0
		.amdhsa_exception_fp_denorm_src 0
		.amdhsa_exception_fp_ieee_div_zero 0
		.amdhsa_exception_fp_ieee_overflow 0
		.amdhsa_exception_fp_ieee_underflow 0
		.amdhsa_exception_fp_ieee_inexact 0
		.amdhsa_exception_int_div_zero 0
	.end_amdhsa_kernel
	.section	.text._ZN2at6native12_GLOBAL__N_124adaptiveaveragegradinputIN3c108BFloat16EfEEvPT_PKS5_iiiiiil,"axG",@progbits,_ZN2at6native12_GLOBAL__N_124adaptiveaveragegradinputIN3c108BFloat16EfEEvPT_PKS5_iiiiiil,comdat
.Lfunc_end11:
	.size	_ZN2at6native12_GLOBAL__N_124adaptiveaveragegradinputIN3c108BFloat16EfEEvPT_PKS5_iiiiiil, .Lfunc_end11-_ZN2at6native12_GLOBAL__N_124adaptiveaveragegradinputIN3c108BFloat16EfEEvPT_PKS5_iiiiiil
                                        ; -- End function
	.set _ZN2at6native12_GLOBAL__N_124adaptiveaveragegradinputIN3c108BFloat16EfEEvPT_PKS5_iiiiiil.num_vgpr, 45
	.set _ZN2at6native12_GLOBAL__N_124adaptiveaveragegradinputIN3c108BFloat16EfEEvPT_PKS5_iiiiiil.num_agpr, 0
	.set _ZN2at6native12_GLOBAL__N_124adaptiveaveragegradinputIN3c108BFloat16EfEEvPT_PKS5_iiiiiil.numbered_sgpr, 72
	.set _ZN2at6native12_GLOBAL__N_124adaptiveaveragegradinputIN3c108BFloat16EfEEvPT_PKS5_iiiiiil.num_named_barrier, 0
	.set _ZN2at6native12_GLOBAL__N_124adaptiveaveragegradinputIN3c108BFloat16EfEEvPT_PKS5_iiiiiil.private_seg_size, 0
	.set _ZN2at6native12_GLOBAL__N_124adaptiveaveragegradinputIN3c108BFloat16EfEEvPT_PKS5_iiiiiil.uses_vcc, 1
	.set _ZN2at6native12_GLOBAL__N_124adaptiveaveragegradinputIN3c108BFloat16EfEEvPT_PKS5_iiiiiil.uses_flat_scratch, 0
	.set _ZN2at6native12_GLOBAL__N_124adaptiveaveragegradinputIN3c108BFloat16EfEEvPT_PKS5_iiiiiil.has_dyn_sized_stack, 0
	.set _ZN2at6native12_GLOBAL__N_124adaptiveaveragegradinputIN3c108BFloat16EfEEvPT_PKS5_iiiiiil.has_recursion, 0
	.set _ZN2at6native12_GLOBAL__N_124adaptiveaveragegradinputIN3c108BFloat16EfEEvPT_PKS5_iiiiiil.has_indirect_call, 0
	.section	.AMDGPU.csdata,"",@progbits
; Kernel info:
; codeLenInByte = 13488
; TotalNumSgprs: 76
; NumVgprs: 45
; ScratchSize: 0
; MemoryBound: 0
; FloatMode: 240
; IeeeMode: 1
; LDSByteSize: 0 bytes/workgroup (compile time only)
; SGPRBlocks: 9
; VGPRBlocks: 11
; NumSGPRsForWavesPerEU: 76
; NumVGPRsForWavesPerEU: 45
; Occupancy: 5
; WaveLimiterHint : 0
; COMPUTE_PGM_RSRC2:SCRATCH_EN: 0
; COMPUTE_PGM_RSRC2:USER_SGPR: 6
; COMPUTE_PGM_RSRC2:TRAP_HANDLER: 0
; COMPUTE_PGM_RSRC2:TGID_X_EN: 1
; COMPUTE_PGM_RSRC2:TGID_Y_EN: 1
; COMPUTE_PGM_RSRC2:TGID_Z_EN: 0
; COMPUTE_PGM_RSRC2:TIDIG_COMP_CNT: 1
	.section	.AMDGPU.gpr_maximums,"",@progbits
	.set amdgpu.max_num_vgpr, 0
	.set amdgpu.max_num_agpr, 0
	.set amdgpu.max_num_sgpr, 0
	.section	.AMDGPU.csdata,"",@progbits
	.type	__hip_cuid_2410e85faa2c43bd,@object ; @__hip_cuid_2410e85faa2c43bd
	.section	.bss,"aw",@nobits
	.globl	__hip_cuid_2410e85faa2c43bd
__hip_cuid_2410e85faa2c43bd:
	.byte	0                               ; 0x0
	.size	__hip_cuid_2410e85faa2c43bd, 1

	.ident	"AMD clang version 22.0.0git (https://github.com/RadeonOpenCompute/llvm-project roc-7.2.4 26084 f58b06dce1f9c15707c5f808fd002e18c2accf7e)"
	.section	".note.GNU-stack","",@progbits
	.addrsig
	.addrsig_sym __hip_cuid_2410e85faa2c43bd
	.amdgpu_metadata
---
amdhsa.kernels:
  - .args:
      - .address_space:  global
        .offset:         0
        .size:           8
        .value_kind:     global_buffer
      - .address_space:  global
        .offset:         8
        .size:           8
        .value_kind:     global_buffer
      - .offset:         16
        .size:           4
        .value_kind:     by_value
      - .offset:         20
        .size:           4
        .value_kind:     by_value
      - .offset:         24
        .size:           4
        .value_kind:     by_value
      - .offset:         28
        .size:           4
        .value_kind:     by_value
      - .offset:         32
        .size:           4
        .value_kind:     by_value
      - .offset:         36
        .size:           4
        .value_kind:     by_value
      - .offset:         40
        .size:           8
        .value_kind:     by_value
      - .offset:         48
        .size:           8
        .value_kind:     by_value
      - .offset:         56
        .size:           8
        .value_kind:     by_value
      - .offset:         64
        .size:           8
        .value_kind:     by_value
      - .offset:         72
        .size:           8
        .value_kind:     by_value
      - .offset:         80
        .size:           8
        .value_kind:     by_value
      - .offset:         88
        .size:           8
        .value_kind:     by_value
      - .offset:         96
        .size:           4
        .value_kind:     hidden_block_count_x
      - .offset:         100
        .size:           4
        .value_kind:     hidden_block_count_y
      - .offset:         104
        .size:           4
        .value_kind:     hidden_block_count_z
      - .offset:         108
        .size:           2
        .value_kind:     hidden_group_size_x
      - .offset:         110
        .size:           2
        .value_kind:     hidden_group_size_y
      - .offset:         112
        .size:           2
        .value_kind:     hidden_group_size_z
      - .offset:         114
        .size:           2
        .value_kind:     hidden_remainder_x
      - .offset:         116
        .size:           2
        .value_kind:     hidden_remainder_y
      - .offset:         118
        .size:           2
        .value_kind:     hidden_remainder_z
      - .offset:         136
        .size:           8
        .value_kind:     hidden_global_offset_x
      - .offset:         144
        .size:           8
        .value_kind:     hidden_global_offset_y
      - .offset:         152
        .size:           8
        .value_kind:     hidden_global_offset_z
      - .offset:         160
        .size:           2
        .value_kind:     hidden_grid_dims
    .group_segment_fixed_size: 0
    .kernarg_segment_align: 8
    .kernarg_segment_size: 352
    .language:       OpenCL C
    .language_version:
      - 2
      - 0
    .max_flat_workgroup_size: 1024
    .name:           _ZN2at6native12_GLOBAL__N_119adaptiveaveragepoolIddEEvPKT_PS3_iiiiiilllllll
    .private_segment_fixed_size: 0
    .sgpr_count:     59
    .sgpr_spill_count: 0
    .symbol:         _ZN2at6native12_GLOBAL__N_119adaptiveaveragepoolIddEEvPKT_PS3_iiiiiilllllll.kd
    .uniform_work_group_size: 1
    .uses_dynamic_stack: false
    .vgpr_count:     22
    .vgpr_spill_count: 0
    .wavefront_size: 64
  - .args:
      - .address_space:  global
        .offset:         0
        .size:           8
        .value_kind:     global_buffer
      - .address_space:  global
        .offset:         8
        .size:           8
        .value_kind:     global_buffer
      - .offset:         16
        .size:           4
        .value_kind:     by_value
      - .offset:         20
        .size:           4
        .value_kind:     by_value
      - .offset:         24
        .size:           4
        .value_kind:     by_value
      - .offset:         28
        .size:           4
        .value_kind:     by_value
      - .offset:         32
        .size:           4
        .value_kind:     by_value
      - .offset:         36
        .size:           4
        .value_kind:     by_value
      - .offset:         40
        .size:           8
        .value_kind:     by_value
      - .offset:         48
        .size:           8
        .value_kind:     by_value
      - .offset:         56
        .size:           8
        .value_kind:     by_value
      - .offset:         64
        .size:           8
        .value_kind:     by_value
      - .offset:         72
        .size:           8
        .value_kind:     by_value
      - .offset:         80
        .size:           8
        .value_kind:     by_value
      - .offset:         88
        .size:           8
        .value_kind:     by_value
      - .offset:         96
        .size:           4
        .value_kind:     hidden_block_count_x
      - .offset:         100
        .size:           4
        .value_kind:     hidden_block_count_y
      - .offset:         104
        .size:           4
        .value_kind:     hidden_block_count_z
      - .offset:         108
        .size:           2
        .value_kind:     hidden_group_size_x
      - .offset:         110
        .size:           2
        .value_kind:     hidden_group_size_y
      - .offset:         112
        .size:           2
        .value_kind:     hidden_group_size_z
      - .offset:         114
        .size:           2
        .value_kind:     hidden_remainder_x
      - .offset:         116
        .size:           2
        .value_kind:     hidden_remainder_y
      - .offset:         118
        .size:           2
        .value_kind:     hidden_remainder_z
      - .offset:         136
        .size:           8
        .value_kind:     hidden_global_offset_x
      - .offset:         144
        .size:           8
        .value_kind:     hidden_global_offset_y
      - .offset:         152
        .size:           8
        .value_kind:     hidden_global_offset_z
      - .offset:         160
        .size:           2
        .value_kind:     hidden_grid_dims
    .group_segment_fixed_size: 0
    .kernarg_segment_align: 8
    .kernarg_segment_size: 352
    .language:       OpenCL C
    .language_version:
      - 2
      - 0
    .max_flat_workgroup_size: 1024
    .name:           _ZN2at6native12_GLOBAL__N_119adaptiveaveragepoolIffEEvPKT_PS3_iiiiiilllllll
    .private_segment_fixed_size: 0
    .sgpr_count:     59
    .sgpr_spill_count: 0
    .symbol:         _ZN2at6native12_GLOBAL__N_119adaptiveaveragepoolIffEEvPKT_PS3_iiiiiilllllll.kd
    .uniform_work_group_size: 1
    .uses_dynamic_stack: false
    .vgpr_count:     22
    .vgpr_spill_count: 0
    .wavefront_size: 64
  - .args:
      - .address_space:  global
        .offset:         0
        .size:           8
        .value_kind:     global_buffer
      - .address_space:  global
        .offset:         8
        .size:           8
        .value_kind:     global_buffer
      - .offset:         16
        .size:           4
        .value_kind:     by_value
      - .offset:         20
        .size:           4
        .value_kind:     by_value
      - .offset:         24
        .size:           4
        .value_kind:     by_value
      - .offset:         28
        .size:           4
        .value_kind:     by_value
      - .offset:         32
        .size:           4
        .value_kind:     by_value
      - .offset:         36
        .size:           4
        .value_kind:     by_value
      - .offset:         40
        .size:           8
        .value_kind:     by_value
      - .offset:         48
        .size:           8
        .value_kind:     by_value
      - .offset:         56
        .size:           8
        .value_kind:     by_value
      - .offset:         64
        .size:           8
        .value_kind:     by_value
      - .offset:         72
        .size:           8
        .value_kind:     by_value
      - .offset:         80
        .size:           8
        .value_kind:     by_value
      - .offset:         88
        .size:           8
        .value_kind:     by_value
      - .offset:         96
        .size:           4
        .value_kind:     hidden_block_count_x
      - .offset:         100
        .size:           4
        .value_kind:     hidden_block_count_y
      - .offset:         104
        .size:           4
        .value_kind:     hidden_block_count_z
      - .offset:         108
        .size:           2
        .value_kind:     hidden_group_size_x
      - .offset:         110
        .size:           2
        .value_kind:     hidden_group_size_y
      - .offset:         112
        .size:           2
        .value_kind:     hidden_group_size_z
      - .offset:         114
        .size:           2
        .value_kind:     hidden_remainder_x
      - .offset:         116
        .size:           2
        .value_kind:     hidden_remainder_y
      - .offset:         118
        .size:           2
        .value_kind:     hidden_remainder_z
      - .offset:         136
        .size:           8
        .value_kind:     hidden_global_offset_x
      - .offset:         144
        .size:           8
        .value_kind:     hidden_global_offset_y
      - .offset:         152
        .size:           8
        .value_kind:     hidden_global_offset_z
      - .offset:         160
        .size:           2
        .value_kind:     hidden_grid_dims
    .group_segment_fixed_size: 0
    .kernarg_segment_align: 8
    .kernarg_segment_size: 352
    .language:       OpenCL C
    .language_version:
      - 2
      - 0
    .max_flat_workgroup_size: 1024
    .name:           _ZN2at6native12_GLOBAL__N_119adaptiveaveragepoolIN3c104HalfEfEEvPKT_PS5_iiiiiilllllll
    .private_segment_fixed_size: 0
    .sgpr_count:     59
    .sgpr_spill_count: 0
    .symbol:         _ZN2at6native12_GLOBAL__N_119adaptiveaveragepoolIN3c104HalfEfEEvPKT_PS5_iiiiiilllllll.kd
    .uniform_work_group_size: 1
    .uses_dynamic_stack: false
    .vgpr_count:     22
    .vgpr_spill_count: 0
    .wavefront_size: 64
  - .args:
      - .address_space:  global
        .offset:         0
        .size:           8
        .value_kind:     global_buffer
      - .address_space:  global
        .offset:         8
        .size:           8
        .value_kind:     global_buffer
      - .offset:         16
        .size:           4
        .value_kind:     by_value
      - .offset:         20
        .size:           4
        .value_kind:     by_value
      - .offset:         24
        .size:           4
        .value_kind:     by_value
      - .offset:         28
        .size:           4
        .value_kind:     by_value
      - .offset:         32
        .size:           4
        .value_kind:     by_value
      - .offset:         36
        .size:           4
        .value_kind:     by_value
      - .offset:         40
        .size:           8
        .value_kind:     by_value
      - .offset:         48
        .size:           8
        .value_kind:     by_value
      - .offset:         56
        .size:           8
        .value_kind:     by_value
      - .offset:         64
        .size:           8
        .value_kind:     by_value
      - .offset:         72
        .size:           8
        .value_kind:     by_value
      - .offset:         80
        .size:           8
        .value_kind:     by_value
      - .offset:         88
        .size:           8
        .value_kind:     by_value
      - .offset:         96
        .size:           4
        .value_kind:     hidden_block_count_x
      - .offset:         100
        .size:           4
        .value_kind:     hidden_block_count_y
      - .offset:         104
        .size:           4
        .value_kind:     hidden_block_count_z
      - .offset:         108
        .size:           2
        .value_kind:     hidden_group_size_x
      - .offset:         110
        .size:           2
        .value_kind:     hidden_group_size_y
      - .offset:         112
        .size:           2
        .value_kind:     hidden_group_size_z
      - .offset:         114
        .size:           2
        .value_kind:     hidden_remainder_x
      - .offset:         116
        .size:           2
        .value_kind:     hidden_remainder_y
      - .offset:         118
        .size:           2
        .value_kind:     hidden_remainder_z
      - .offset:         136
        .size:           8
        .value_kind:     hidden_global_offset_x
      - .offset:         144
        .size:           8
        .value_kind:     hidden_global_offset_y
      - .offset:         152
        .size:           8
        .value_kind:     hidden_global_offset_z
      - .offset:         160
        .size:           2
        .value_kind:     hidden_grid_dims
    .group_segment_fixed_size: 0
    .kernarg_segment_align: 8
    .kernarg_segment_size: 352
    .language:       OpenCL C
    .language_version:
      - 2
      - 0
    .max_flat_workgroup_size: 1024
    .name:           _ZN2at6native12_GLOBAL__N_119adaptiveaveragepoolIN3c108BFloat16EfEEvPKT_PS5_iiiiiilllllll
    .private_segment_fixed_size: 0
    .sgpr_count:     60
    .sgpr_spill_count: 0
    .symbol:         _ZN2at6native12_GLOBAL__N_119adaptiveaveragepoolIN3c108BFloat16EfEEvPKT_PS5_iiiiiilllllll.kd
    .uniform_work_group_size: 1
    .uses_dynamic_stack: false
    .vgpr_count:     23
    .vgpr_spill_count: 0
    .wavefront_size: 64
  - .args:
      - .address_space:  global
        .offset:         0
        .size:           8
        .value_kind:     global_buffer
      - .address_space:  global
        .offset:         8
        .size:           8
        .value_kind:     global_buffer
      - .offset:         16
        .size:           4
        .value_kind:     by_value
      - .offset:         20
        .size:           4
        .value_kind:     by_value
      - .offset:         24
        .size:           4
        .value_kind:     by_value
      - .offset:         28
        .size:           4
        .value_kind:     by_value
      - .offset:         32
        .size:           4
        .value_kind:     by_value
      - .offset:         36
        .size:           4
        .value_kind:     by_value
      - .offset:         40
        .size:           8
        .value_kind:     by_value
      - .offset:         48
        .size:           4
        .value_kind:     hidden_block_count_x
      - .offset:         52
        .size:           4
        .value_kind:     hidden_block_count_y
      - .offset:         56
        .size:           4
        .value_kind:     hidden_block_count_z
      - .offset:         60
        .size:           2
        .value_kind:     hidden_group_size_x
      - .offset:         62
        .size:           2
        .value_kind:     hidden_group_size_y
      - .offset:         64
        .size:           2
        .value_kind:     hidden_group_size_z
      - .offset:         66
        .size:           2
        .value_kind:     hidden_remainder_x
      - .offset:         68
        .size:           2
        .value_kind:     hidden_remainder_y
      - .offset:         70
        .size:           2
        .value_kind:     hidden_remainder_z
      - .offset:         88
        .size:           8
        .value_kind:     hidden_global_offset_x
      - .offset:         96
        .size:           8
        .value_kind:     hidden_global_offset_y
      - .offset:         104
        .size:           8
        .value_kind:     hidden_global_offset_z
      - .offset:         112
        .size:           2
        .value_kind:     hidden_grid_dims
    .group_segment_fixed_size: 0
    .kernarg_segment_align: 8
    .kernarg_segment_size: 304
    .language:       OpenCL C
    .language_version:
      - 2
      - 0
    .max_flat_workgroup_size: 1024
    .name:           _ZN2at6native12_GLOBAL__N_130atomicadaptiveaveragegradinputIdEEvPT_PKS3_iiiiiil
    .private_segment_fixed_size: 0
    .sgpr_count:     56
    .sgpr_spill_count: 0
    .symbol:         _ZN2at6native12_GLOBAL__N_130atomicadaptiveaveragegradinputIdEEvPT_PKS3_iiiiiil.kd
    .uniform_work_group_size: 1
    .uses_dynamic_stack: false
    .vgpr_count:     32
    .vgpr_spill_count: 0
    .wavefront_size: 64
  - .args:
      - .address_space:  global
        .offset:         0
        .size:           8
        .value_kind:     global_buffer
      - .address_space:  global
        .offset:         8
        .size:           8
        .value_kind:     global_buffer
      - .offset:         16
        .size:           4
        .value_kind:     by_value
      - .offset:         20
        .size:           4
        .value_kind:     by_value
      - .offset:         24
        .size:           4
        .value_kind:     by_value
      - .offset:         28
        .size:           4
        .value_kind:     by_value
      - .offset:         32
        .size:           4
        .value_kind:     by_value
      - .offset:         36
        .size:           4
        .value_kind:     by_value
      - .offset:         40
        .size:           8
        .value_kind:     by_value
      - .offset:         48
        .size:           4
        .value_kind:     hidden_block_count_x
      - .offset:         52
        .size:           4
        .value_kind:     hidden_block_count_y
      - .offset:         56
        .size:           4
        .value_kind:     hidden_block_count_z
      - .offset:         60
        .size:           2
        .value_kind:     hidden_group_size_x
      - .offset:         62
        .size:           2
        .value_kind:     hidden_group_size_y
      - .offset:         64
        .size:           2
        .value_kind:     hidden_group_size_z
      - .offset:         66
        .size:           2
        .value_kind:     hidden_remainder_x
      - .offset:         68
        .size:           2
        .value_kind:     hidden_remainder_y
      - .offset:         70
        .size:           2
        .value_kind:     hidden_remainder_z
      - .offset:         88
        .size:           8
        .value_kind:     hidden_global_offset_x
      - .offset:         96
        .size:           8
        .value_kind:     hidden_global_offset_y
      - .offset:         104
        .size:           8
        .value_kind:     hidden_global_offset_z
      - .offset:         112
        .size:           2
        .value_kind:     hidden_grid_dims
    .group_segment_fixed_size: 0
    .kernarg_segment_align: 8
    .kernarg_segment_size: 304
    .language:       OpenCL C
    .language_version:
      - 2
      - 0
    .max_flat_workgroup_size: 1024
    .name:           _ZN2at6native12_GLOBAL__N_130atomicadaptiveaveragegradinputIfEEvPT_PKS3_iiiiiil
    .private_segment_fixed_size: 0
    .sgpr_count:     56
    .sgpr_spill_count: 0
    .symbol:         _ZN2at6native12_GLOBAL__N_130atomicadaptiveaveragegradinputIfEEvPT_PKS3_iiiiiil.kd
    .uniform_work_group_size: 1
    .uses_dynamic_stack: false
    .vgpr_count:     26
    .vgpr_spill_count: 0
    .wavefront_size: 64
  - .args:
      - .address_space:  global
        .offset:         0
        .size:           8
        .value_kind:     global_buffer
      - .address_space:  global
        .offset:         8
        .size:           8
        .value_kind:     global_buffer
      - .offset:         16
        .size:           4
        .value_kind:     by_value
      - .offset:         20
        .size:           4
        .value_kind:     by_value
      - .offset:         24
        .size:           4
        .value_kind:     by_value
      - .offset:         28
        .size:           4
        .value_kind:     by_value
      - .offset:         32
        .size:           4
        .value_kind:     by_value
      - .offset:         36
        .size:           4
        .value_kind:     by_value
      - .offset:         40
        .size:           8
        .value_kind:     by_value
      - .offset:         48
        .size:           4
        .value_kind:     hidden_block_count_x
      - .offset:         52
        .size:           4
        .value_kind:     hidden_block_count_y
      - .offset:         56
        .size:           4
        .value_kind:     hidden_block_count_z
      - .offset:         60
        .size:           2
        .value_kind:     hidden_group_size_x
      - .offset:         62
        .size:           2
        .value_kind:     hidden_group_size_y
      - .offset:         64
        .size:           2
        .value_kind:     hidden_group_size_z
      - .offset:         66
        .size:           2
        .value_kind:     hidden_remainder_x
      - .offset:         68
        .size:           2
        .value_kind:     hidden_remainder_y
      - .offset:         70
        .size:           2
        .value_kind:     hidden_remainder_z
      - .offset:         88
        .size:           8
        .value_kind:     hidden_global_offset_x
      - .offset:         96
        .size:           8
        .value_kind:     hidden_global_offset_y
      - .offset:         104
        .size:           8
        .value_kind:     hidden_global_offset_z
      - .offset:         112
        .size:           2
        .value_kind:     hidden_grid_dims
    .group_segment_fixed_size: 0
    .kernarg_segment_align: 8
    .kernarg_segment_size: 304
    .language:       OpenCL C
    .language_version:
      - 2
      - 0
    .max_flat_workgroup_size: 1024
    .name:           _ZN2at6native12_GLOBAL__N_130atomicadaptiveaveragegradinputIN3c104HalfEEEvPT_PKS5_iiiiiil
    .private_segment_fixed_size: 0
    .sgpr_count:     61
    .sgpr_spill_count: 0
    .symbol:         _ZN2at6native12_GLOBAL__N_130atomicadaptiveaveragegradinputIN3c104HalfEEEvPT_PKS5_iiiiiil.kd
    .uniform_work_group_size: 1
    .uses_dynamic_stack: false
    .vgpr_count:     27
    .vgpr_spill_count: 0
    .wavefront_size: 64
  - .args:
      - .address_space:  global
        .offset:         0
        .size:           8
        .value_kind:     global_buffer
      - .address_space:  global
        .offset:         8
        .size:           8
        .value_kind:     global_buffer
      - .offset:         16
        .size:           4
        .value_kind:     by_value
      - .offset:         20
        .size:           4
        .value_kind:     by_value
      - .offset:         24
        .size:           4
        .value_kind:     by_value
      - .offset:         28
        .size:           4
        .value_kind:     by_value
      - .offset:         32
        .size:           4
        .value_kind:     by_value
      - .offset:         36
        .size:           4
        .value_kind:     by_value
      - .offset:         40
        .size:           8
        .value_kind:     by_value
      - .offset:         48
        .size:           4
        .value_kind:     hidden_block_count_x
      - .offset:         52
        .size:           4
        .value_kind:     hidden_block_count_y
      - .offset:         56
        .size:           4
        .value_kind:     hidden_block_count_z
      - .offset:         60
        .size:           2
        .value_kind:     hidden_group_size_x
      - .offset:         62
        .size:           2
        .value_kind:     hidden_group_size_y
      - .offset:         64
        .size:           2
        .value_kind:     hidden_group_size_z
      - .offset:         66
        .size:           2
        .value_kind:     hidden_remainder_x
      - .offset:         68
        .size:           2
        .value_kind:     hidden_remainder_y
      - .offset:         70
        .size:           2
        .value_kind:     hidden_remainder_z
      - .offset:         88
        .size:           8
        .value_kind:     hidden_global_offset_x
      - .offset:         96
        .size:           8
        .value_kind:     hidden_global_offset_y
      - .offset:         104
        .size:           8
        .value_kind:     hidden_global_offset_z
      - .offset:         112
        .size:           2
        .value_kind:     hidden_grid_dims
    .group_segment_fixed_size: 0
    .kernarg_segment_align: 8
    .kernarg_segment_size: 304
    .language:       OpenCL C
    .language_version:
      - 2
      - 0
    .max_flat_workgroup_size: 1024
    .name:           _ZN2at6native12_GLOBAL__N_130atomicadaptiveaveragegradinputIN3c108BFloat16EEEvPT_PKS5_iiiiiil
    .private_segment_fixed_size: 0
    .sgpr_count:     60
    .sgpr_spill_count: 0
    .symbol:         _ZN2at6native12_GLOBAL__N_130atomicadaptiveaveragegradinputIN3c108BFloat16EEEvPT_PKS5_iiiiiil.kd
    .uniform_work_group_size: 1
    .uses_dynamic_stack: false
    .vgpr_count:     27
    .vgpr_spill_count: 0
    .wavefront_size: 64
  - .args:
      - .address_space:  global
        .offset:         0
        .size:           8
        .value_kind:     global_buffer
      - .address_space:  global
        .offset:         8
        .size:           8
        .value_kind:     global_buffer
      - .offset:         16
        .size:           4
        .value_kind:     by_value
      - .offset:         20
        .size:           4
        .value_kind:     by_value
      - .offset:         24
        .size:           4
        .value_kind:     by_value
      - .offset:         28
        .size:           4
        .value_kind:     by_value
      - .offset:         32
        .size:           4
        .value_kind:     by_value
      - .offset:         36
        .size:           4
        .value_kind:     by_value
      - .offset:         40
        .size:           8
        .value_kind:     by_value
      - .offset:         48
        .size:           4
        .value_kind:     hidden_block_count_x
      - .offset:         52
        .size:           4
        .value_kind:     hidden_block_count_y
      - .offset:         56
        .size:           4
        .value_kind:     hidden_block_count_z
      - .offset:         60
        .size:           2
        .value_kind:     hidden_group_size_x
      - .offset:         62
        .size:           2
        .value_kind:     hidden_group_size_y
      - .offset:         64
        .size:           2
        .value_kind:     hidden_group_size_z
      - .offset:         66
        .size:           2
        .value_kind:     hidden_remainder_x
      - .offset:         68
        .size:           2
        .value_kind:     hidden_remainder_y
      - .offset:         70
        .size:           2
        .value_kind:     hidden_remainder_z
      - .offset:         88
        .size:           8
        .value_kind:     hidden_global_offset_x
      - .offset:         96
        .size:           8
        .value_kind:     hidden_global_offset_y
      - .offset:         104
        .size:           8
        .value_kind:     hidden_global_offset_z
      - .offset:         112
        .size:           2
        .value_kind:     hidden_grid_dims
    .group_segment_fixed_size: 0
    .kernarg_segment_align: 8
    .kernarg_segment_size: 304
    .language:       OpenCL C
    .language_version:
      - 2
      - 0
    .max_flat_workgroup_size: 1024
    .name:           _ZN2at6native12_GLOBAL__N_124adaptiveaveragegradinputIddEEvPT_PKS3_iiiiiil
    .private_segment_fixed_size: 0
    .sgpr_count:     75
    .sgpr_spill_count: 0
    .symbol:         _ZN2at6native12_GLOBAL__N_124adaptiveaveragegradinputIddEEvPT_PKS3_iiiiiil.kd
    .uniform_work_group_size: 1
    .uses_dynamic_stack: false
    .vgpr_count:     44
    .vgpr_spill_count: 0
    .wavefront_size: 64
  - .args:
      - .address_space:  global
        .offset:         0
        .size:           8
        .value_kind:     global_buffer
      - .address_space:  global
        .offset:         8
        .size:           8
        .value_kind:     global_buffer
      - .offset:         16
        .size:           4
        .value_kind:     by_value
      - .offset:         20
        .size:           4
        .value_kind:     by_value
      - .offset:         24
        .size:           4
        .value_kind:     by_value
      - .offset:         28
        .size:           4
        .value_kind:     by_value
      - .offset:         32
        .size:           4
        .value_kind:     by_value
      - .offset:         36
        .size:           4
        .value_kind:     by_value
      - .offset:         40
        .size:           8
        .value_kind:     by_value
      - .offset:         48
        .size:           4
        .value_kind:     hidden_block_count_x
      - .offset:         52
        .size:           4
        .value_kind:     hidden_block_count_y
      - .offset:         56
        .size:           4
        .value_kind:     hidden_block_count_z
      - .offset:         60
        .size:           2
        .value_kind:     hidden_group_size_x
      - .offset:         62
        .size:           2
        .value_kind:     hidden_group_size_y
      - .offset:         64
        .size:           2
        .value_kind:     hidden_group_size_z
      - .offset:         66
        .size:           2
        .value_kind:     hidden_remainder_x
      - .offset:         68
        .size:           2
        .value_kind:     hidden_remainder_y
      - .offset:         70
        .size:           2
        .value_kind:     hidden_remainder_z
      - .offset:         88
        .size:           8
        .value_kind:     hidden_global_offset_x
      - .offset:         96
        .size:           8
        .value_kind:     hidden_global_offset_y
      - .offset:         104
        .size:           8
        .value_kind:     hidden_global_offset_z
      - .offset:         112
        .size:           2
        .value_kind:     hidden_grid_dims
    .group_segment_fixed_size: 0
    .kernarg_segment_align: 8
    .kernarg_segment_size: 304
    .language:       OpenCL C
    .language_version:
      - 2
      - 0
    .max_flat_workgroup_size: 1024
    .name:           _ZN2at6native12_GLOBAL__N_124adaptiveaveragegradinputIffEEvPT_PKS3_iiiiiil
    .private_segment_fixed_size: 0
    .sgpr_count:     75
    .sgpr_spill_count: 0
    .symbol:         _ZN2at6native12_GLOBAL__N_124adaptiveaveragegradinputIffEEvPT_PKS3_iiiiiil.kd
    .uniform_work_group_size: 1
    .uses_dynamic_stack: false
    .vgpr_count:     43
    .vgpr_spill_count: 0
    .wavefront_size: 64
  - .args:
      - .address_space:  global
        .offset:         0
        .size:           8
        .value_kind:     global_buffer
      - .address_space:  global
        .offset:         8
        .size:           8
        .value_kind:     global_buffer
      - .offset:         16
        .size:           4
        .value_kind:     by_value
      - .offset:         20
        .size:           4
        .value_kind:     by_value
      - .offset:         24
        .size:           4
        .value_kind:     by_value
      - .offset:         28
        .size:           4
        .value_kind:     by_value
      - .offset:         32
        .size:           4
        .value_kind:     by_value
      - .offset:         36
        .size:           4
        .value_kind:     by_value
      - .offset:         40
        .size:           8
        .value_kind:     by_value
      - .offset:         48
        .size:           4
        .value_kind:     hidden_block_count_x
      - .offset:         52
        .size:           4
        .value_kind:     hidden_block_count_y
      - .offset:         56
        .size:           4
        .value_kind:     hidden_block_count_z
      - .offset:         60
        .size:           2
        .value_kind:     hidden_group_size_x
      - .offset:         62
        .size:           2
        .value_kind:     hidden_group_size_y
      - .offset:         64
        .size:           2
        .value_kind:     hidden_group_size_z
      - .offset:         66
        .size:           2
        .value_kind:     hidden_remainder_x
      - .offset:         68
        .size:           2
        .value_kind:     hidden_remainder_y
      - .offset:         70
        .size:           2
        .value_kind:     hidden_remainder_z
      - .offset:         88
        .size:           8
        .value_kind:     hidden_global_offset_x
      - .offset:         96
        .size:           8
        .value_kind:     hidden_global_offset_y
      - .offset:         104
        .size:           8
        .value_kind:     hidden_global_offset_z
      - .offset:         112
        .size:           2
        .value_kind:     hidden_grid_dims
    .group_segment_fixed_size: 0
    .kernarg_segment_align: 8
    .kernarg_segment_size: 304
    .language:       OpenCL C
    .language_version:
      - 2
      - 0
    .max_flat_workgroup_size: 1024
    .name:           _ZN2at6native12_GLOBAL__N_124adaptiveaveragegradinputIN3c104HalfEfEEvPT_PKS5_iiiiiil
    .private_segment_fixed_size: 0
    .sgpr_count:     75
    .sgpr_spill_count: 0
    .symbol:         _ZN2at6native12_GLOBAL__N_124adaptiveaveragegradinputIN3c104HalfEfEEvPT_PKS5_iiiiiil.kd
    .uniform_work_group_size: 1
    .uses_dynamic_stack: false
    .vgpr_count:     43
    .vgpr_spill_count: 0
    .wavefront_size: 64
  - .args:
      - .address_space:  global
        .offset:         0
        .size:           8
        .value_kind:     global_buffer
      - .address_space:  global
        .offset:         8
        .size:           8
        .value_kind:     global_buffer
      - .offset:         16
        .size:           4
        .value_kind:     by_value
      - .offset:         20
        .size:           4
        .value_kind:     by_value
      - .offset:         24
        .size:           4
        .value_kind:     by_value
      - .offset:         28
        .size:           4
        .value_kind:     by_value
      - .offset:         32
        .size:           4
        .value_kind:     by_value
      - .offset:         36
        .size:           4
        .value_kind:     by_value
      - .offset:         40
        .size:           8
        .value_kind:     by_value
      - .offset:         48
        .size:           4
        .value_kind:     hidden_block_count_x
      - .offset:         52
        .size:           4
        .value_kind:     hidden_block_count_y
      - .offset:         56
        .size:           4
        .value_kind:     hidden_block_count_z
      - .offset:         60
        .size:           2
        .value_kind:     hidden_group_size_x
      - .offset:         62
        .size:           2
        .value_kind:     hidden_group_size_y
      - .offset:         64
        .size:           2
        .value_kind:     hidden_group_size_z
      - .offset:         66
        .size:           2
        .value_kind:     hidden_remainder_x
      - .offset:         68
        .size:           2
        .value_kind:     hidden_remainder_y
      - .offset:         70
        .size:           2
        .value_kind:     hidden_remainder_z
      - .offset:         88
        .size:           8
        .value_kind:     hidden_global_offset_x
      - .offset:         96
        .size:           8
        .value_kind:     hidden_global_offset_y
      - .offset:         104
        .size:           8
        .value_kind:     hidden_global_offset_z
      - .offset:         112
        .size:           2
        .value_kind:     hidden_grid_dims
    .group_segment_fixed_size: 0
    .kernarg_segment_align: 8
    .kernarg_segment_size: 304
    .language:       OpenCL C
    .language_version:
      - 2
      - 0
    .max_flat_workgroup_size: 1024
    .name:           _ZN2at6native12_GLOBAL__N_124adaptiveaveragegradinputIN3c108BFloat16EfEEvPT_PKS5_iiiiiil
    .private_segment_fixed_size: 0
    .sgpr_count:     76
    .sgpr_spill_count: 0
    .symbol:         _ZN2at6native12_GLOBAL__N_124adaptiveaveragegradinputIN3c108BFloat16EfEEvPT_PKS5_iiiiiil.kd
    .uniform_work_group_size: 1
    .uses_dynamic_stack: false
    .vgpr_count:     45
    .vgpr_spill_count: 0
    .wavefront_size: 64
amdhsa.target:   amdgcn-amd-amdhsa--gfx906
amdhsa.version:
  - 1
  - 2
...

	.end_amdgpu_metadata
